;; amdgpu-corpus repo=ROCm/rocSPARSE kind=compiled arch=gfx1250 opt=O3
	.amdgcn_target "amdgcn-amd-amdhsa--gfx1250"
	.amdhsa_code_object_version 6
	.section	.text._ZN9rocsparseL13ellmvn_kernelILj512EiffffEEvT0_S1_S1_NS_24const_host_device_scalarIT4_EEPKS1_PKT1_PKT2_S4_PT3_21rocsparse_index_base_b,"axG",@progbits,_ZN9rocsparseL13ellmvn_kernelILj512EiffffEEvT0_S1_S1_NS_24const_host_device_scalarIT4_EEPKS1_PKT1_PKT2_S4_PT3_21rocsparse_index_base_b,comdat
	.globl	_ZN9rocsparseL13ellmvn_kernelILj512EiffffEEvT0_S1_S1_NS_24const_host_device_scalarIT4_EEPKS1_PKT1_PKT2_S4_PT3_21rocsparse_index_base_b ; -- Begin function _ZN9rocsparseL13ellmvn_kernelILj512EiffffEEvT0_S1_S1_NS_24const_host_device_scalarIT4_EEPKS1_PKT1_PKT2_S4_PT3_21rocsparse_index_base_b
	.p2align	8
	.type	_ZN9rocsparseL13ellmvn_kernelILj512EiffffEEvT0_S1_S1_NS_24const_host_device_scalarIT4_EEPKS1_PKT1_PKT2_S4_PT3_21rocsparse_index_base_b,@function
_ZN9rocsparseL13ellmvn_kernelILj512EiffffEEvT0_S1_S1_NS_24const_host_device_scalarIT4_EEPKS1_PKT1_PKT2_S4_PT3_21rocsparse_index_base_b: ; @_ZN9rocsparseL13ellmvn_kernelILj512EiffffEEvT0_S1_S1_NS_24const_host_device_scalarIT4_EEPKS1_PKT1_PKT2_S4_PT3_21rocsparse_index_base_b
; %bb.0:
	s_clause 0x2
	s_load_b64 s[14:15], s[0:1], 0x40
	s_load_b64 s[12:13], s[0:1], 0x10
	;; [unrolled: 1-line block ×3, first 2 shown]
	s_wait_kmcnt 0x0
	s_bitcmp1_b32 s15, 0
	s_cselect_b32 s4, -1, 0
	s_delay_alu instid0(SALU_CYCLE_1)
	s_and_b32 vcc_lo, exec_lo, s4
	s_xor_b32 s4, s4, -1
	s_cbranch_vccnz .LBB0_2
; %bb.1:
	s_load_b32 s12, s[12:13], 0x0
.LBB0_2:
	s_and_not1_b32 vcc_lo, exec_lo, s4
	s_cbranch_vccnz .LBB0_4
; %bb.3:
	s_load_b32 s2, s[2:3], 0x0
.LBB0_4:
	s_wait_kmcnt 0x0
	s_cmp_neq_f32 s12, 0
	s_cselect_b32 s3, -1, 0
	s_cmp_neq_f32 s2, 1.0
	s_cselect_b32 s4, -1, 0
	s_delay_alu instid0(SALU_CYCLE_1) | instskip(NEXT) | instid1(SALU_CYCLE_1)
	s_or_b32 s3, s3, s4
	s_and_not1_b32 vcc_lo, exec_lo, s3
	s_cbranch_vccnz .LBB0_14
; %bb.5:
	s_load_b96 s[8:10], s[0:1], 0x0
	s_bfe_u32 s3, ttmp6, 0x4000c
	s_and_b32 s4, ttmp6, 15
	s_add_co_i32 s3, s3, 1
	s_getreg_b32 s5, hwreg(HW_REG_IB_STS2, 6, 4)
	s_mul_i32 s3, ttmp9, s3
	s_delay_alu instid0(SALU_CYCLE_1) | instskip(SKIP_2) | instid1(SALU_CYCLE_1)
	s_add_co_i32 s4, s4, s3
	s_cmp_eq_u32 s5, 0
	s_cselect_b32 s3, ttmp9, s4
	v_lshl_or_b32 v0, s3, 9, v0
	s_mov_b32 s3, exec_lo
	s_wait_kmcnt 0x0
	s_delay_alu instid0(VALU_DEP_1)
	v_cmpx_gt_i32_e64 s8, v0
	s_cbranch_execz .LBB0_14
; %bb.6:
	s_load_b64 s[16:17], s[0:1], 0x38
	s_cmp_lt_i32 s10, 1
	s_cbranch_scc1 .LBB0_15
; %bb.7:
	s_clause 0x1
	s_load_b64 s[18:19], s[0:1], 0x28
	s_load_b128 s[4:7], s[0:1], 0x18
	s_add_co_i32 s3, s10, -1
	s_delay_alu instid0(SALU_CYCLE_1) | instskip(SKIP_3) | instid1(VALU_DEP_1)
	v_dual_mov_b32 v4, s3 :: v_dual_ashrrev_i32 v1, 31, v0
	s_wait_xcnt 0x0
	s_ashr_i32 s1, s8, 31
	s_mov_b32 s0, s8
	v_lshlrev_b64_e32 v[2:3], 2, v[0:1]
	v_mov_b32_e32 v1, 0
	s_lshl_b64 s[10:11], s[0:1], 2
	s_mov_b32 s1, 0
	s_branch .LBB0_9
.LBB0_8:                                ;   in Loop: Header=BB0_9 Depth=1
	s_or_b32 exec_lo, exec_lo, s3
	v_sub_co_u32 v4, s3, v4, 1
	v_add_nc_u64_e32 v[2:3], s[10:11], v[2:3]
	s_or_b32 s0, s0, s3
	s_delay_alu instid0(SALU_CYCLE_1) | instskip(NEXT) | instid1(SALU_CYCLE_1)
	s_and_b32 s0, exec_lo, s0
	s_or_b32 s1, s0, s1
	s_delay_alu instid0(SALU_CYCLE_1)
	s_and_not1_b32 exec_lo, exec_lo, s1
	s_cbranch_execz .LBB0_11
.LBB0_9:                                ; =>This Inner Loop Header: Depth=1
	s_wait_kmcnt 0x0
	s_delay_alu instid0(VALU_DEP_1) | instskip(SKIP_3) | instid1(VALU_DEP_1)
	v_add_nc_u64_e32 v[6:7], s[4:5], v[2:3]
	global_load_b32 v5, v[6:7], off th:TH_LOAD_NT
	s_wait_loadcnt 0x0
	v_subrev_nc_u32_e32 v5, s14, v5
	v_cmp_gt_i32_e32 vcc_lo, 0, v5
	v_cmp_le_i32_e64 s0, s9, v5
	s_or_b32 s0, vcc_lo, s0
	s_delay_alu instid0(SALU_CYCLE_1) | instskip(NEXT) | instid1(SALU_CYCLE_1)
	s_xor_b32 s8, s0, -1
	s_and_saveexec_b32 s3, s8
	s_cbranch_execz .LBB0_8
; %bb.10:                               ;   in Loop: Header=BB0_9 Depth=1
	v_add_nc_u64_e32 v[6:7], s[6:7], v[2:3]
	global_load_b32 v8, v[6:7], off th:TH_LOAD_NT
	global_load_b32 v9, v5, s[18:19] scale_offset
	s_wait_loadcnt 0x0
	v_fmac_f32_e32 v1, v8, v9
	s_branch .LBB0_8
.LBB0_11:
	s_or_b32 exec_lo, exec_lo, s1
	v_mul_f32_e32 v1, s12, v1
	s_cmp_eq_f32 s2, 0
	s_mov_b32 s0, 0
	s_cbranch_scc0 .LBB0_16
.LBB0_12:
	s_wait_kmcnt 0x0
	global_store_b32 v0, v1, s[16:17] scale_offset th:TH_STORE_NT
	s_and_not1_b32 vcc_lo, exec_lo, s0
	s_cbranch_vccnz .LBB0_14
.LBB0_13:
	s_wait_kmcnt 0x0
	global_load_b32 v2, v0, s[16:17] scale_offset th:TH_LOAD_NT
	s_wait_loadcnt 0x0
	s_wait_xcnt 0x1
	v_fmac_f32_e32 v1, s2, v2
	global_store_b32 v0, v1, s[16:17] scale_offset th:TH_STORE_NT
.LBB0_14:
	s_endpgm
.LBB0_15:
	v_mov_b32_e32 v1, 0
	s_delay_alu instid0(VALU_DEP_1)
	v_mul_f32_e32 v1, s12, v1
	s_cmp_eq_f32 s2, 0
	s_wait_xcnt 0x0
	s_mov_b32 s0, 0
	s_cbranch_scc1 .LBB0_12
.LBB0_16:
	s_branch .LBB0_13
	.section	.rodata,"a",@progbits
	.p2align	6, 0x0
	.amdhsa_kernel _ZN9rocsparseL13ellmvn_kernelILj512EiffffEEvT0_S1_S1_NS_24const_host_device_scalarIT4_EEPKS1_PKT1_PKT2_S4_PT3_21rocsparse_index_base_b
		.amdhsa_group_segment_fixed_size 0
		.amdhsa_private_segment_fixed_size 0
		.amdhsa_kernarg_size 72
		.amdhsa_user_sgpr_count 2
		.amdhsa_user_sgpr_dispatch_ptr 0
		.amdhsa_user_sgpr_queue_ptr 0
		.amdhsa_user_sgpr_kernarg_segment_ptr 1
		.amdhsa_user_sgpr_dispatch_id 0
		.amdhsa_user_sgpr_kernarg_preload_length 0
		.amdhsa_user_sgpr_kernarg_preload_offset 0
		.amdhsa_user_sgpr_private_segment_size 0
		.amdhsa_wavefront_size32 1
		.amdhsa_uses_dynamic_stack 0
		.amdhsa_enable_private_segment 0
		.amdhsa_system_sgpr_workgroup_id_x 1
		.amdhsa_system_sgpr_workgroup_id_y 0
		.amdhsa_system_sgpr_workgroup_id_z 0
		.amdhsa_system_sgpr_workgroup_info 0
		.amdhsa_system_vgpr_workitem_id 0
		.amdhsa_next_free_vgpr 10
		.amdhsa_next_free_sgpr 20
		.amdhsa_named_barrier_count 0
		.amdhsa_reserve_vcc 1
		.amdhsa_float_round_mode_32 0
		.amdhsa_float_round_mode_16_64 0
		.amdhsa_float_denorm_mode_32 3
		.amdhsa_float_denorm_mode_16_64 3
		.amdhsa_fp16_overflow 0
		.amdhsa_memory_ordered 1
		.amdhsa_forward_progress 1
		.amdhsa_inst_pref_size 5
		.amdhsa_round_robin_scheduling 0
		.amdhsa_exception_fp_ieee_invalid_op 0
		.amdhsa_exception_fp_denorm_src 0
		.amdhsa_exception_fp_ieee_div_zero 0
		.amdhsa_exception_fp_ieee_overflow 0
		.amdhsa_exception_fp_ieee_underflow 0
		.amdhsa_exception_fp_ieee_inexact 0
		.amdhsa_exception_int_div_zero 0
	.end_amdhsa_kernel
	.section	.text._ZN9rocsparseL13ellmvn_kernelILj512EiffffEEvT0_S1_S1_NS_24const_host_device_scalarIT4_EEPKS1_PKT1_PKT2_S4_PT3_21rocsparse_index_base_b,"axG",@progbits,_ZN9rocsparseL13ellmvn_kernelILj512EiffffEEvT0_S1_S1_NS_24const_host_device_scalarIT4_EEPKS1_PKT1_PKT2_S4_PT3_21rocsparse_index_base_b,comdat
.Lfunc_end0:
	.size	_ZN9rocsparseL13ellmvn_kernelILj512EiffffEEvT0_S1_S1_NS_24const_host_device_scalarIT4_EEPKS1_PKT1_PKT2_S4_PT3_21rocsparse_index_base_b, .Lfunc_end0-_ZN9rocsparseL13ellmvn_kernelILj512EiffffEEvT0_S1_S1_NS_24const_host_device_scalarIT4_EEPKS1_PKT1_PKT2_S4_PT3_21rocsparse_index_base_b
                                        ; -- End function
	.set _ZN9rocsparseL13ellmvn_kernelILj512EiffffEEvT0_S1_S1_NS_24const_host_device_scalarIT4_EEPKS1_PKT1_PKT2_S4_PT3_21rocsparse_index_base_b.num_vgpr, 10
	.set _ZN9rocsparseL13ellmvn_kernelILj512EiffffEEvT0_S1_S1_NS_24const_host_device_scalarIT4_EEPKS1_PKT1_PKT2_S4_PT3_21rocsparse_index_base_b.num_agpr, 0
	.set _ZN9rocsparseL13ellmvn_kernelILj512EiffffEEvT0_S1_S1_NS_24const_host_device_scalarIT4_EEPKS1_PKT1_PKT2_S4_PT3_21rocsparse_index_base_b.numbered_sgpr, 20
	.set _ZN9rocsparseL13ellmvn_kernelILj512EiffffEEvT0_S1_S1_NS_24const_host_device_scalarIT4_EEPKS1_PKT1_PKT2_S4_PT3_21rocsparse_index_base_b.num_named_barrier, 0
	.set _ZN9rocsparseL13ellmvn_kernelILj512EiffffEEvT0_S1_S1_NS_24const_host_device_scalarIT4_EEPKS1_PKT1_PKT2_S4_PT3_21rocsparse_index_base_b.private_seg_size, 0
	.set _ZN9rocsparseL13ellmvn_kernelILj512EiffffEEvT0_S1_S1_NS_24const_host_device_scalarIT4_EEPKS1_PKT1_PKT2_S4_PT3_21rocsparse_index_base_b.uses_vcc, 1
	.set _ZN9rocsparseL13ellmvn_kernelILj512EiffffEEvT0_S1_S1_NS_24const_host_device_scalarIT4_EEPKS1_PKT1_PKT2_S4_PT3_21rocsparse_index_base_b.uses_flat_scratch, 0
	.set _ZN9rocsparseL13ellmvn_kernelILj512EiffffEEvT0_S1_S1_NS_24const_host_device_scalarIT4_EEPKS1_PKT1_PKT2_S4_PT3_21rocsparse_index_base_b.has_dyn_sized_stack, 0
	.set _ZN9rocsparseL13ellmvn_kernelILj512EiffffEEvT0_S1_S1_NS_24const_host_device_scalarIT4_EEPKS1_PKT1_PKT2_S4_PT3_21rocsparse_index_base_b.has_recursion, 0
	.set _ZN9rocsparseL13ellmvn_kernelILj512EiffffEEvT0_S1_S1_NS_24const_host_device_scalarIT4_EEPKS1_PKT1_PKT2_S4_PT3_21rocsparse_index_base_b.has_indirect_call, 0
	.section	.AMDGPU.csdata,"",@progbits
; Kernel info:
; codeLenInByte = 548
; TotalNumSgprs: 22
; NumVgprs: 10
; ScratchSize: 0
; MemoryBound: 0
; FloatMode: 240
; IeeeMode: 1
; LDSByteSize: 0 bytes/workgroup (compile time only)
; SGPRBlocks: 0
; VGPRBlocks: 0
; NumSGPRsForWavesPerEU: 22
; NumVGPRsForWavesPerEU: 10
; NamedBarCnt: 0
; Occupancy: 16
; WaveLimiterHint : 1
; COMPUTE_PGM_RSRC2:SCRATCH_EN: 0
; COMPUTE_PGM_RSRC2:USER_SGPR: 2
; COMPUTE_PGM_RSRC2:TRAP_HANDLER: 0
; COMPUTE_PGM_RSRC2:TGID_X_EN: 1
; COMPUTE_PGM_RSRC2:TGID_Y_EN: 0
; COMPUTE_PGM_RSRC2:TGID_Z_EN: 0
; COMPUTE_PGM_RSRC2:TIDIG_COMP_CNT: 0
	.section	.text._ZN9rocsparseL13ellmvt_kernelILj1024EiffffEEv20rocsparse_operation_T0_S2_S2_NS_24const_host_device_scalarIT4_EEPKS2_PKT1_PKT2_PT3_21rocsparse_index_base_b,"axG",@progbits,_ZN9rocsparseL13ellmvt_kernelILj1024EiffffEEv20rocsparse_operation_T0_S2_S2_NS_24const_host_device_scalarIT4_EEPKS2_PKT1_PKT2_PT3_21rocsparse_index_base_b,comdat
	.globl	_ZN9rocsparseL13ellmvt_kernelILj1024EiffffEEv20rocsparse_operation_T0_S2_S2_NS_24const_host_device_scalarIT4_EEPKS2_PKT1_PKT2_PT3_21rocsparse_index_base_b ; -- Begin function _ZN9rocsparseL13ellmvt_kernelILj1024EiffffEEv20rocsparse_operation_T0_S2_S2_NS_24const_host_device_scalarIT4_EEPKS2_PKT1_PKT2_PT3_21rocsparse_index_base_b
	.p2align	8
	.type	_ZN9rocsparseL13ellmvt_kernelILj1024EiffffEEv20rocsparse_operation_T0_S2_S2_NS_24const_host_device_scalarIT4_EEPKS2_PKT1_PKT2_PT3_21rocsparse_index_base_b,@function
_ZN9rocsparseL13ellmvt_kernelILj1024EiffffEEv20rocsparse_operation_T0_S2_S2_NS_24const_host_device_scalarIT4_EEPKS2_PKT1_PKT2_PT3_21rocsparse_index_base_b: ; @_ZN9rocsparseL13ellmvt_kernelILj1024EiffffEEv20rocsparse_operation_T0_S2_S2_NS_24const_host_device_scalarIT4_EEPKS2_PKT1_PKT2_PT3_21rocsparse_index_base_b
; %bb.0:
	s_clause 0x1
	s_load_b64 s[2:3], s[0:1], 0x38
	s_load_b64 s[16:17], s[0:1], 0x10
	s_wait_kmcnt 0x0
	s_bitcmp1_b32 s3, 0
	s_cselect_b32 s3, -1, 0
	s_delay_alu instid0(SALU_CYCLE_1)
	s_and_b32 vcc_lo, exec_lo, s3
	s_cbranch_vccnz .LBB1_2
; %bb.1:
	s_load_b32 s16, s[16:17], 0x0
.LBB1_2:
	s_wait_kmcnt 0x0
	s_cmp_eq_f32 s16, 0
	s_cbranch_scc1 .LBB1_9
; %bb.3:
	s_load_b96 s[12:14], s[0:1], 0x4
	s_bfe_u32 s3, ttmp6, 0x4000c
	s_and_b32 s4, ttmp6, 15
	s_add_co_i32 s3, s3, 1
	s_getreg_b32 s5, hwreg(HW_REG_IB_STS2, 6, 4)
	s_mul_i32 s3, ttmp9, s3
	s_delay_alu instid0(SALU_CYCLE_1) | instskip(SKIP_2) | instid1(SALU_CYCLE_1)
	s_add_co_i32 s4, s4, s3
	s_cmp_eq_u32 s5, 0
	s_cselect_b32 s3, ttmp9, s4
	v_lshl_or_b32 v0, s3, 10, v0
	s_mov_b32 s3, exec_lo
	s_wait_kmcnt 0x0
	s_delay_alu instid0(VALU_DEP_1)
	v_cmpx_gt_i32_e64 s12, v0
	s_cbranch_execz .LBB1_9
; %bb.4:
	s_cmp_lt_i32 s14, 1
	s_cbranch_scc1 .LBB1_9
; %bb.5:
	s_load_b256 s[4:11], s[0:1], 0x18
	s_wait_xcnt 0x0
	s_ashr_i32 s1, s12, 31
	s_mov_b32 s0, s12
                                        ; implicit-def: $sgpr3
	s_wait_kmcnt 0x0
	global_load_b32 v2, v0, s[8:9] scale_offset
	v_ashrrev_i32_e32 v1, 31, v0
	s_wait_xcnt 0x0
	s_lshl_b64 s[8:9], s[0:1], 2
	s_mov_b32 s1, 0
	s_wait_loadcnt 0x0
	v_mul_f32_e32 v2, s16, v2
	v_lshlrev_b64_e32 v[0:1], 2, v[0:1]
	s_branch .LBB1_7
.LBB1_6:                                ;   in Loop: Header=BB1_7 Depth=1
	s_wait_xcnt 0x0
	s_or_b32 exec_lo, exec_lo, s0
	s_delay_alu instid0(SALU_CYCLE_1) | instskip(NEXT) | instid1(SALU_CYCLE_1)
	s_and_b32 s0, exec_lo, s3
	s_or_b32 s1, s0, s1
	s_delay_alu instid0(SALU_CYCLE_1)
	s_and_not1_b32 exec_lo, exec_lo, s1
	s_cbranch_execz .LBB1_9
.LBB1_7:                                ; =>This Inner Loop Header: Depth=1
	s_delay_alu instid0(VALU_DEP_1) | instskip(SKIP_4) | instid1(VALU_DEP_1)
	v_add_nc_u64_e32 v[4:5], s[4:5], v[0:1]
	s_or_b32 s3, s3, exec_lo
	global_load_b32 v3, v[4:5], off th:TH_LOAD_NT
	s_wait_loadcnt 0x0
	v_subrev_nc_u32_e32 v3, s2, v3
	v_cmp_lt_i32_e32 vcc_lo, -1, v3
	v_cmp_gt_i32_e64 s0, s13, v3
	s_and_b32 s12, vcc_lo, s0
	s_wait_xcnt 0x0
	s_and_saveexec_b32 s0, s12
	s_cbranch_execz .LBB1_6
; %bb.8:                                ;   in Loop: Header=BB1_7 Depth=1
	v_add_nc_u64_e32 v[4:5], s[6:7], v[0:1]
	s_add_co_i32 s14, s14, -1
	v_add_nc_u64_e32 v[0:1], s[8:9], v[0:1]
	s_cmp_eq_u32 s14, 0
	s_cselect_b32 s12, -1, 0
	s_and_not1_b32 s3, s3, exec_lo
	global_load_b32 v4, v[4:5], off th:TH_LOAD_NT
	s_and_b32 s12, s12, exec_lo
	s_delay_alu instid0(SALU_CYCLE_1)
	s_or_b32 s3, s3, s12
	s_wait_loadcnt 0x0
	s_wait_xcnt 0x0
	v_mul_f32_e32 v4, v2, v4
	global_atomic_add_f32 v3, v4, s[10:11] scale_offset scope:SCOPE_DEV
	s_branch .LBB1_6
.LBB1_9:
	s_endpgm
	.section	.rodata,"a",@progbits
	.p2align	6, 0x0
	.amdhsa_kernel _ZN9rocsparseL13ellmvt_kernelILj1024EiffffEEv20rocsparse_operation_T0_S2_S2_NS_24const_host_device_scalarIT4_EEPKS2_PKT1_PKT2_PT3_21rocsparse_index_base_b
		.amdhsa_group_segment_fixed_size 0
		.amdhsa_private_segment_fixed_size 0
		.amdhsa_kernarg_size 64
		.amdhsa_user_sgpr_count 2
		.amdhsa_user_sgpr_dispatch_ptr 0
		.amdhsa_user_sgpr_queue_ptr 0
		.amdhsa_user_sgpr_kernarg_segment_ptr 1
		.amdhsa_user_sgpr_dispatch_id 0
		.amdhsa_user_sgpr_kernarg_preload_length 0
		.amdhsa_user_sgpr_kernarg_preload_offset 0
		.amdhsa_user_sgpr_private_segment_size 0
		.amdhsa_wavefront_size32 1
		.amdhsa_uses_dynamic_stack 0
		.amdhsa_enable_private_segment 0
		.amdhsa_system_sgpr_workgroup_id_x 1
		.amdhsa_system_sgpr_workgroup_id_y 0
		.amdhsa_system_sgpr_workgroup_id_z 0
		.amdhsa_system_sgpr_workgroup_info 0
		.amdhsa_system_vgpr_workitem_id 0
		.amdhsa_next_free_vgpr 6
		.amdhsa_next_free_sgpr 18
		.amdhsa_named_barrier_count 0
		.amdhsa_reserve_vcc 1
		.amdhsa_float_round_mode_32 0
		.amdhsa_float_round_mode_16_64 0
		.amdhsa_float_denorm_mode_32 3
		.amdhsa_float_denorm_mode_16_64 3
		.amdhsa_fp16_overflow 0
		.amdhsa_memory_ordered 1
		.amdhsa_forward_progress 1
		.amdhsa_inst_pref_size 4
		.amdhsa_round_robin_scheduling 0
		.amdhsa_exception_fp_ieee_invalid_op 0
		.amdhsa_exception_fp_denorm_src 0
		.amdhsa_exception_fp_ieee_div_zero 0
		.amdhsa_exception_fp_ieee_overflow 0
		.amdhsa_exception_fp_ieee_underflow 0
		.amdhsa_exception_fp_ieee_inexact 0
		.amdhsa_exception_int_div_zero 0
	.end_amdhsa_kernel
	.section	.text._ZN9rocsparseL13ellmvt_kernelILj1024EiffffEEv20rocsparse_operation_T0_S2_S2_NS_24const_host_device_scalarIT4_EEPKS2_PKT1_PKT2_PT3_21rocsparse_index_base_b,"axG",@progbits,_ZN9rocsparseL13ellmvt_kernelILj1024EiffffEEv20rocsparse_operation_T0_S2_S2_NS_24const_host_device_scalarIT4_EEPKS2_PKT1_PKT2_PT3_21rocsparse_index_base_b,comdat
.Lfunc_end1:
	.size	_ZN9rocsparseL13ellmvt_kernelILj1024EiffffEEv20rocsparse_operation_T0_S2_S2_NS_24const_host_device_scalarIT4_EEPKS2_PKT1_PKT2_PT3_21rocsparse_index_base_b, .Lfunc_end1-_ZN9rocsparseL13ellmvt_kernelILj1024EiffffEEv20rocsparse_operation_T0_S2_S2_NS_24const_host_device_scalarIT4_EEPKS2_PKT1_PKT2_PT3_21rocsparse_index_base_b
                                        ; -- End function
	.set _ZN9rocsparseL13ellmvt_kernelILj1024EiffffEEv20rocsparse_operation_T0_S2_S2_NS_24const_host_device_scalarIT4_EEPKS2_PKT1_PKT2_PT3_21rocsparse_index_base_b.num_vgpr, 6
	.set _ZN9rocsparseL13ellmvt_kernelILj1024EiffffEEv20rocsparse_operation_T0_S2_S2_NS_24const_host_device_scalarIT4_EEPKS2_PKT1_PKT2_PT3_21rocsparse_index_base_b.num_agpr, 0
	.set _ZN9rocsparseL13ellmvt_kernelILj1024EiffffEEv20rocsparse_operation_T0_S2_S2_NS_24const_host_device_scalarIT4_EEPKS2_PKT1_PKT2_PT3_21rocsparse_index_base_b.numbered_sgpr, 18
	.set _ZN9rocsparseL13ellmvt_kernelILj1024EiffffEEv20rocsparse_operation_T0_S2_S2_NS_24const_host_device_scalarIT4_EEPKS2_PKT1_PKT2_PT3_21rocsparse_index_base_b.num_named_barrier, 0
	.set _ZN9rocsparseL13ellmvt_kernelILj1024EiffffEEv20rocsparse_operation_T0_S2_S2_NS_24const_host_device_scalarIT4_EEPKS2_PKT1_PKT2_PT3_21rocsparse_index_base_b.private_seg_size, 0
	.set _ZN9rocsparseL13ellmvt_kernelILj1024EiffffEEv20rocsparse_operation_T0_S2_S2_NS_24const_host_device_scalarIT4_EEPKS2_PKT1_PKT2_PT3_21rocsparse_index_base_b.uses_vcc, 1
	.set _ZN9rocsparseL13ellmvt_kernelILj1024EiffffEEv20rocsparse_operation_T0_S2_S2_NS_24const_host_device_scalarIT4_EEPKS2_PKT1_PKT2_PT3_21rocsparse_index_base_b.uses_flat_scratch, 0
	.set _ZN9rocsparseL13ellmvt_kernelILj1024EiffffEEv20rocsparse_operation_T0_S2_S2_NS_24const_host_device_scalarIT4_EEPKS2_PKT1_PKT2_PT3_21rocsparse_index_base_b.has_dyn_sized_stack, 0
	.set _ZN9rocsparseL13ellmvt_kernelILj1024EiffffEEv20rocsparse_operation_T0_S2_S2_NS_24const_host_device_scalarIT4_EEPKS2_PKT1_PKT2_PT3_21rocsparse_index_base_b.has_recursion, 0
	.set _ZN9rocsparseL13ellmvt_kernelILj1024EiffffEEv20rocsparse_operation_T0_S2_S2_NS_24const_host_device_scalarIT4_EEPKS2_PKT1_PKT2_PT3_21rocsparse_index_base_b.has_indirect_call, 0
	.section	.AMDGPU.csdata,"",@progbits
; Kernel info:
; codeLenInByte = 392
; TotalNumSgprs: 20
; NumVgprs: 6
; ScratchSize: 0
; MemoryBound: 0
; FloatMode: 240
; IeeeMode: 1
; LDSByteSize: 0 bytes/workgroup (compile time only)
; SGPRBlocks: 0
; VGPRBlocks: 0
; NumSGPRsForWavesPerEU: 20
; NumVGPRsForWavesPerEU: 6
; NamedBarCnt: 0
; Occupancy: 16
; WaveLimiterHint : 1
; COMPUTE_PGM_RSRC2:SCRATCH_EN: 0
; COMPUTE_PGM_RSRC2:USER_SGPR: 2
; COMPUTE_PGM_RSRC2:TRAP_HANDLER: 0
; COMPUTE_PGM_RSRC2:TGID_X_EN: 1
; COMPUTE_PGM_RSRC2:TGID_Y_EN: 0
; COMPUTE_PGM_RSRC2:TGID_Z_EN: 0
; COMPUTE_PGM_RSRC2:TIDIG_COMP_CNT: 0
	.section	.text._ZN9rocsparseL13ellmvn_kernelILj512ElffffEEvT0_S1_S1_NS_24const_host_device_scalarIT4_EEPKS1_PKT1_PKT2_S4_PT3_21rocsparse_index_base_b,"axG",@progbits,_ZN9rocsparseL13ellmvn_kernelILj512ElffffEEvT0_S1_S1_NS_24const_host_device_scalarIT4_EEPKS1_PKT1_PKT2_S4_PT3_21rocsparse_index_base_b,comdat
	.globl	_ZN9rocsparseL13ellmvn_kernelILj512ElffffEEvT0_S1_S1_NS_24const_host_device_scalarIT4_EEPKS1_PKT1_PKT2_S4_PT3_21rocsparse_index_base_b ; -- Begin function _ZN9rocsparseL13ellmvn_kernelILj512ElffffEEvT0_S1_S1_NS_24const_host_device_scalarIT4_EEPKS1_PKT1_PKT2_S4_PT3_21rocsparse_index_base_b
	.p2align	8
	.type	_ZN9rocsparseL13ellmvn_kernelILj512ElffffEEvT0_S1_S1_NS_24const_host_device_scalarIT4_EEPKS1_PKT1_PKT2_S4_PT3_21rocsparse_index_base_b,@function
_ZN9rocsparseL13ellmvn_kernelILj512ElffffEEvT0_S1_S1_NS_24const_host_device_scalarIT4_EEPKS1_PKT1_PKT2_S4_PT3_21rocsparse_index_base_b: ; @_ZN9rocsparseL13ellmvn_kernelILj512ElffffEEvT0_S1_S1_NS_24const_host_device_scalarIT4_EEPKS1_PKT1_PKT2_S4_PT3_21rocsparse_index_base_b
; %bb.0:
	s_clause 0x2
	s_load_b64 s[14:15], s[0:1], 0x48
	s_load_b64 s[12:13], s[0:1], 0x38
	s_load_b256 s[4:11], s[0:1], 0x0
	s_wait_kmcnt 0x0
	s_bitcmp1_b32 s15, 0
	s_cselect_b32 s2, -1, 0
	s_delay_alu instid0(SALU_CYCLE_1)
	s_and_b32 vcc_lo, exec_lo, s2
	s_xor_b32 s2, s2, -1
	s_cbranch_vccnz .LBB2_2
; %bb.1:
	s_load_b32 s10, s[10:11], 0x0
.LBB2_2:
	s_and_not1_b32 vcc_lo, exec_lo, s2
	s_cbranch_vccnz .LBB2_4
; %bb.3:
	s_load_b32 s12, s[12:13], 0x0
.LBB2_4:
	s_wait_kmcnt 0x0
	s_cmp_neq_f32 s10, 0
	s_cselect_b32 s2, -1, 0
	s_cmp_neq_f32 s12, 1.0
	s_cselect_b32 s3, -1, 0
	s_delay_alu instid0(SALU_CYCLE_1) | instskip(NEXT) | instid1(SALU_CYCLE_1)
	s_or_b32 s2, s2, s3
	s_and_not1_b32 vcc_lo, exec_lo, s2
	s_cbranch_vccnz .LBB2_15
; %bb.5:
	s_bfe_u32 s2, ttmp6, 0x4000c
	s_and_b32 s3, ttmp6, 15
	s_add_co_i32 s2, s2, 1
	s_getreg_b32 s11, hwreg(HW_REG_IB_STS2, 6, 4)
	s_mul_i32 s2, ttmp9, s2
	v_mov_b32_e32 v1, 0
	s_add_co_i32 s3, s3, s2
	s_cmp_eq_u32 s11, 0
	s_cselect_b32 s2, ttmp9, s3
	s_delay_alu instid0(SALU_CYCLE_1) | instskip(SKIP_1) | instid1(VALU_DEP_1)
	v_lshl_or_b32 v0, s2, 9, v0
	s_mov_b32 s2, exec_lo
	v_cmpx_gt_i64_e64 s[4:5], v[0:1]
	s_cbranch_execz .LBB2_15
; %bb.6:
	v_cmp_lt_i64_e64 s2, s[8:9], 1
	v_mov_b32_e32 v8, v1
	s_and_b32 vcc_lo, exec_lo, s2
	s_cbranch_vccnz .LBB2_12
; %bb.7:
	s_clause 0x1
	s_load_b128 s[20:23], s[0:1], 0x20
	s_load_b64 s[16:17], s[0:1], 0x30
	v_mov_b32_e32 v8, 0
	s_mov_b32 s15, 0
	s_add_nc_u64 s[8:9], s[8:9], -1
	s_lshl_b64 s[18:19], s[4:5], 3
	s_lshl_b64 s[4:5], s[4:5], 2
	s_mov_b32 s3, s15
	s_wait_kmcnt 0x0
	v_lshl_add_u64 v[2:3], v[0:1], 3, s[20:21]
	v_lshl_add_u64 v[4:5], v[0:1], 2, s[22:23]
	s_branch .LBB2_9
.LBB2_8:                                ;   in Loop: Header=BB2_9 Depth=1
	s_or_b32 exec_lo, exec_lo, s11
	s_cmp_eq_u64 s[8:9], 0
	v_add_nc_u64_e32 v[2:3], s[18:19], v[2:3]
	s_cselect_b32 s11, -1, 0
	v_add_nc_u64_e32 v[4:5], s[4:5], v[4:5]
	s_or_b32 s2, s2, s11
	s_add_nc_u64 s[8:9], s[8:9], -1
	s_and_b32 s2, exec_lo, s2
	s_delay_alu instid0(SALU_CYCLE_1) | instskip(NEXT) | instid1(SALU_CYCLE_1)
	s_or_b32 s3, s2, s3
	s_and_not1_b32 exec_lo, exec_lo, s3
	s_cbranch_execz .LBB2_11
.LBB2_9:                                ; =>This Inner Loop Header: Depth=1
	global_load_b64 v[6:7], v[2:3], off th:TH_LOAD_NT
	s_wait_loadcnt 0x0
	v_sub_nc_u64_e64 v[6:7], v[6:7], s[14:15]
	s_delay_alu instid0(VALU_DEP_1) | instskip(SKIP_2) | instid1(SALU_CYCLE_1)
	v_cmp_gt_i64_e32 vcc_lo, 0, v[6:7]
	v_cmp_le_i64_e64 s2, s[6:7], v[6:7]
	s_or_b32 s2, vcc_lo, s2
	s_xor_b32 s13, s2, -1
	s_delay_alu instid0(SALU_CYCLE_1)
	s_and_saveexec_b32 s11, s13
	s_cbranch_execz .LBB2_8
; %bb.10:                               ;   in Loop: Header=BB2_9 Depth=1
	v_lshl_add_u64 v[6:7], v[6:7], 2, s[16:17]
	global_load_b32 v9, v[4:5], off th:TH_LOAD_NT
	global_load_b32 v10, v[6:7], off
	s_wait_loadcnt 0x0
	v_fmac_f32_e32 v8, v9, v10
	s_branch .LBB2_8
.LBB2_11:
	s_or_b32 exec_lo, exec_lo, s3
.LBB2_12:
	s_load_b64 s[0:1], s[0:1], 0x40
	s_delay_alu instid0(VALU_DEP_1)
	v_mul_f32_e32 v2, s10, v8
	s_cmp_eq_f32 s12, 0
	s_wait_kmcnt 0x0
	v_lshl_add_u64 v[0:1], v[0:1], 2, s[0:1]
	s_mov_b32 s0, 0
	s_cbranch_scc0 .LBB2_16
; %bb.13:
	global_store_b32 v[0:1], v2, off th:TH_STORE_NT
	s_and_not1_b32 vcc_lo, exec_lo, s0
	s_cbranch_vccnz .LBB2_15
.LBB2_14:
	global_load_b32 v3, v[0:1], off th:TH_LOAD_NT
	s_wait_loadcnt 0x0
	s_wait_xcnt 0x1
	v_fmac_f32_e32 v2, s12, v3
	global_store_b32 v[0:1], v2, off th:TH_STORE_NT
.LBB2_15:
	s_endpgm
.LBB2_16:
	s_branch .LBB2_14
	.section	.rodata,"a",@progbits
	.p2align	6, 0x0
	.amdhsa_kernel _ZN9rocsparseL13ellmvn_kernelILj512ElffffEEvT0_S1_S1_NS_24const_host_device_scalarIT4_EEPKS1_PKT1_PKT2_S4_PT3_21rocsparse_index_base_b
		.amdhsa_group_segment_fixed_size 0
		.amdhsa_private_segment_fixed_size 0
		.amdhsa_kernarg_size 80
		.amdhsa_user_sgpr_count 2
		.amdhsa_user_sgpr_dispatch_ptr 0
		.amdhsa_user_sgpr_queue_ptr 0
		.amdhsa_user_sgpr_kernarg_segment_ptr 1
		.amdhsa_user_sgpr_dispatch_id 0
		.amdhsa_user_sgpr_kernarg_preload_length 0
		.amdhsa_user_sgpr_kernarg_preload_offset 0
		.amdhsa_user_sgpr_private_segment_size 0
		.amdhsa_wavefront_size32 1
		.amdhsa_uses_dynamic_stack 0
		.amdhsa_enable_private_segment 0
		.amdhsa_system_sgpr_workgroup_id_x 1
		.amdhsa_system_sgpr_workgroup_id_y 0
		.amdhsa_system_sgpr_workgroup_id_z 0
		.amdhsa_system_sgpr_workgroup_info 0
		.amdhsa_system_vgpr_workitem_id 0
		.amdhsa_next_free_vgpr 11
		.amdhsa_next_free_sgpr 24
		.amdhsa_named_barrier_count 0
		.amdhsa_reserve_vcc 1
		.amdhsa_float_round_mode_32 0
		.amdhsa_float_round_mode_16_64 0
		.amdhsa_float_denorm_mode_32 3
		.amdhsa_float_denorm_mode_16_64 3
		.amdhsa_fp16_overflow 0
		.amdhsa_memory_ordered 1
		.amdhsa_forward_progress 1
		.amdhsa_inst_pref_size 5
		.amdhsa_round_robin_scheduling 0
		.amdhsa_exception_fp_ieee_invalid_op 0
		.amdhsa_exception_fp_denorm_src 0
		.amdhsa_exception_fp_ieee_div_zero 0
		.amdhsa_exception_fp_ieee_overflow 0
		.amdhsa_exception_fp_ieee_underflow 0
		.amdhsa_exception_fp_ieee_inexact 0
		.amdhsa_exception_int_div_zero 0
	.end_amdhsa_kernel
	.section	.text._ZN9rocsparseL13ellmvn_kernelILj512ElffffEEvT0_S1_S1_NS_24const_host_device_scalarIT4_EEPKS1_PKT1_PKT2_S4_PT3_21rocsparse_index_base_b,"axG",@progbits,_ZN9rocsparseL13ellmvn_kernelILj512ElffffEEvT0_S1_S1_NS_24const_host_device_scalarIT4_EEPKS1_PKT1_PKT2_S4_PT3_21rocsparse_index_base_b,comdat
.Lfunc_end2:
	.size	_ZN9rocsparseL13ellmvn_kernelILj512ElffffEEvT0_S1_S1_NS_24const_host_device_scalarIT4_EEPKS1_PKT1_PKT2_S4_PT3_21rocsparse_index_base_b, .Lfunc_end2-_ZN9rocsparseL13ellmvn_kernelILj512ElffffEEvT0_S1_S1_NS_24const_host_device_scalarIT4_EEPKS1_PKT1_PKT2_S4_PT3_21rocsparse_index_base_b
                                        ; -- End function
	.set _ZN9rocsparseL13ellmvn_kernelILj512ElffffEEvT0_S1_S1_NS_24const_host_device_scalarIT4_EEPKS1_PKT1_PKT2_S4_PT3_21rocsparse_index_base_b.num_vgpr, 11
	.set _ZN9rocsparseL13ellmvn_kernelILj512ElffffEEvT0_S1_S1_NS_24const_host_device_scalarIT4_EEPKS1_PKT1_PKT2_S4_PT3_21rocsparse_index_base_b.num_agpr, 0
	.set _ZN9rocsparseL13ellmvn_kernelILj512ElffffEEvT0_S1_S1_NS_24const_host_device_scalarIT4_EEPKS1_PKT1_PKT2_S4_PT3_21rocsparse_index_base_b.numbered_sgpr, 24
	.set _ZN9rocsparseL13ellmvn_kernelILj512ElffffEEvT0_S1_S1_NS_24const_host_device_scalarIT4_EEPKS1_PKT1_PKT2_S4_PT3_21rocsparse_index_base_b.num_named_barrier, 0
	.set _ZN9rocsparseL13ellmvn_kernelILj512ElffffEEvT0_S1_S1_NS_24const_host_device_scalarIT4_EEPKS1_PKT1_PKT2_S4_PT3_21rocsparse_index_base_b.private_seg_size, 0
	.set _ZN9rocsparseL13ellmvn_kernelILj512ElffffEEvT0_S1_S1_NS_24const_host_device_scalarIT4_EEPKS1_PKT1_PKT2_S4_PT3_21rocsparse_index_base_b.uses_vcc, 1
	.set _ZN9rocsparseL13ellmvn_kernelILj512ElffffEEvT0_S1_S1_NS_24const_host_device_scalarIT4_EEPKS1_PKT1_PKT2_S4_PT3_21rocsparse_index_base_b.uses_flat_scratch, 0
	.set _ZN9rocsparseL13ellmvn_kernelILj512ElffffEEvT0_S1_S1_NS_24const_host_device_scalarIT4_EEPKS1_PKT1_PKT2_S4_PT3_21rocsparse_index_base_b.has_dyn_sized_stack, 0
	.set _ZN9rocsparseL13ellmvn_kernelILj512ElffffEEvT0_S1_S1_NS_24const_host_device_scalarIT4_EEPKS1_PKT1_PKT2_S4_PT3_21rocsparse_index_base_b.has_recursion, 0
	.set _ZN9rocsparseL13ellmvn_kernelILj512ElffffEEvT0_S1_S1_NS_24const_host_device_scalarIT4_EEPKS1_PKT1_PKT2_S4_PT3_21rocsparse_index_base_b.has_indirect_call, 0
	.section	.AMDGPU.csdata,"",@progbits
; Kernel info:
; codeLenInByte = 532
; TotalNumSgprs: 26
; NumVgprs: 11
; ScratchSize: 0
; MemoryBound: 0
; FloatMode: 240
; IeeeMode: 1
; LDSByteSize: 0 bytes/workgroup (compile time only)
; SGPRBlocks: 0
; VGPRBlocks: 0
; NumSGPRsForWavesPerEU: 26
; NumVGPRsForWavesPerEU: 11
; NamedBarCnt: 0
; Occupancy: 16
; WaveLimiterHint : 1
; COMPUTE_PGM_RSRC2:SCRATCH_EN: 0
; COMPUTE_PGM_RSRC2:USER_SGPR: 2
; COMPUTE_PGM_RSRC2:TRAP_HANDLER: 0
; COMPUTE_PGM_RSRC2:TGID_X_EN: 1
; COMPUTE_PGM_RSRC2:TGID_Y_EN: 0
; COMPUTE_PGM_RSRC2:TGID_Z_EN: 0
; COMPUTE_PGM_RSRC2:TIDIG_COMP_CNT: 0
	.section	.text._ZN9rocsparseL13ellmvt_kernelILj1024ElffffEEv20rocsparse_operation_T0_S2_S2_NS_24const_host_device_scalarIT4_EEPKS2_PKT1_PKT2_PT3_21rocsparse_index_base_b,"axG",@progbits,_ZN9rocsparseL13ellmvt_kernelILj1024ElffffEEv20rocsparse_operation_T0_S2_S2_NS_24const_host_device_scalarIT4_EEPKS2_PKT1_PKT2_PT3_21rocsparse_index_base_b,comdat
	.globl	_ZN9rocsparseL13ellmvt_kernelILj1024ElffffEEv20rocsparse_operation_T0_S2_S2_NS_24const_host_device_scalarIT4_EEPKS2_PKT1_PKT2_PT3_21rocsparse_index_base_b ; -- Begin function _ZN9rocsparseL13ellmvt_kernelILj1024ElffffEEv20rocsparse_operation_T0_S2_S2_NS_24const_host_device_scalarIT4_EEPKS2_PKT1_PKT2_PT3_21rocsparse_index_base_b
	.p2align	8
	.type	_ZN9rocsparseL13ellmvt_kernelILj1024ElffffEEv20rocsparse_operation_T0_S2_S2_NS_24const_host_device_scalarIT4_EEPKS2_PKT1_PKT2_PT3_21rocsparse_index_base_b,@function
_ZN9rocsparseL13ellmvt_kernelILj1024ElffffEEv20rocsparse_operation_T0_S2_S2_NS_24const_host_device_scalarIT4_EEPKS2_PKT1_PKT2_PT3_21rocsparse_index_base_b: ; @_ZN9rocsparseL13ellmvt_kernelILj1024ElffffEEv20rocsparse_operation_T0_S2_S2_NS_24const_host_device_scalarIT4_EEPKS2_PKT1_PKT2_PT3_21rocsparse_index_base_b
; %bb.0:
	s_clause 0x1
	s_load_b64 s[2:3], s[0:1], 0x48
	s_load_b256 s[4:11], s[0:1], 0x8
	s_wait_kmcnt 0x0
	s_bitcmp1_b32 s3, 0
	s_cselect_b32 s3, -1, 0
	s_delay_alu instid0(SALU_CYCLE_1)
	s_and_b32 vcc_lo, exec_lo, s3
	s_cbranch_vccnz .LBB3_2
; %bb.1:
	s_load_b32 s10, s[10:11], 0x0
.LBB3_2:
	s_wait_kmcnt 0x0
	s_cmp_eq_f32 s10, 0
	s_cbranch_scc1 .LBB3_9
; %bb.3:
	s_bfe_u32 s3, ttmp6, 0x4000c
	s_and_b32 s11, ttmp6, 15
	s_add_co_i32 s3, s3, 1
	s_getreg_b32 s12, hwreg(HW_REG_IB_STS2, 6, 4)
	s_mul_i32 s3, ttmp9, s3
	v_mov_b32_e32 v3, 0
	s_add_co_i32 s11, s11, s3
	s_cmp_eq_u32 s12, 0
	s_cselect_b32 s3, ttmp9, s11
	s_delay_alu instid0(SALU_CYCLE_1) | instskip(SKIP_1) | instid1(VALU_DEP_1)
	v_lshl_or_b32 v2, s3, 10, v0
	s_mov_b32 s3, exec_lo
	v_cmpx_gt_i64_e64 s[4:5], v[2:3]
	s_cbranch_execz .LBB3_9
; %bb.4:
	v_cmp_lt_i64_e64 s3, s[8:9], 1
	s_and_b32 vcc_lo, exec_lo, s3
	s_cbranch_vccnz .LBB3_9
; %bb.5:
	s_load_b256 s[12:19], s[0:1], 0x28
	v_lshlrev_b64_e32 v[0:1], 2, v[2:3]
	s_mov_b32 s3, 0
	s_wait_xcnt 0x0
	s_mov_b32 s1, s3
	s_wait_kmcnt 0x0
	s_delay_alu instid0(VALU_DEP_1)
	v_add_nc_u64_e32 v[4:5], s[16:17], v[0:1]
	v_add_nc_u64_e32 v[0:1], s[14:15], v[0:1]
	v_lshl_add_u64 v[2:3], v[2:3], 3, s[12:13]
                                        ; implicit-def: $sgpr12
	global_load_b32 v4, v[4:5], off
	s_wait_loadcnt 0x0
	v_mul_f32_e32 v6, s10, v4
	s_lshl_b64 s[10:11], s[4:5], 3
	s_lshl_b64 s[4:5], s[4:5], 2
	s_branch .LBB3_7
.LBB3_6:                                ;   in Loop: Header=BB3_7 Depth=1
	s_wait_xcnt 0x0
	s_or_b32 exec_lo, exec_lo, s0
	s_delay_alu instid0(SALU_CYCLE_1) | instskip(NEXT) | instid1(SALU_CYCLE_1)
	s_and_b32 s0, exec_lo, s12
	s_or_b32 s1, s0, s1
	s_delay_alu instid0(SALU_CYCLE_1)
	s_and_not1_b32 exec_lo, exec_lo, s1
	s_cbranch_execz .LBB3_9
.LBB3_7:                                ; =>This Inner Loop Header: Depth=1
	global_load_b64 v[4:5], v[2:3], off th:TH_LOAD_NT
	s_or_b32 s12, s12, exec_lo
	s_wait_loadcnt 0x0
	v_sub_nc_u64_e64 v[4:5], v[4:5], s[2:3]
	s_delay_alu instid0(VALU_DEP_1)
	v_cmp_lt_i64_e32 vcc_lo, -1, v[4:5]
	v_cmp_gt_i64_e64 s0, s[6:7], v[4:5]
	s_and_b32 s13, vcc_lo, s0
	s_wait_xcnt 0x0
	s_and_saveexec_b32 s0, s13
	s_cbranch_execz .LBB3_6
; %bb.8:                                ;   in Loop: Header=BB3_7 Depth=1
	global_load_b32 v7, v[0:1], off th:TH_LOAD_NT
	v_lshl_add_u64 v[4:5], v[4:5], 2, s[18:19]
	s_add_nc_u64 s[8:9], s[8:9], -1
	v_add_nc_u64_e32 v[2:3], s[10:11], v[2:3]
	s_cmp_eq_u64 s[8:9], 0
	s_wait_xcnt 0x0
	v_add_nc_u64_e32 v[0:1], s[4:5], v[0:1]
	s_cselect_b32 s13, -1, 0
	s_and_not1_b32 s12, s12, exec_lo
	s_and_b32 s13, s13, exec_lo
	s_delay_alu instid0(SALU_CYCLE_1)
	s_or_b32 s12, s12, s13
	s_wait_loadcnt 0x0
	v_mul_f32_e32 v7, v6, v7
	global_atomic_add_f32 v[4:5], v7, off scope:SCOPE_DEV
	s_branch .LBB3_6
.LBB3_9:
	s_endpgm
	.section	.rodata,"a",@progbits
	.p2align	6, 0x0
	.amdhsa_kernel _ZN9rocsparseL13ellmvt_kernelILj1024ElffffEEv20rocsparse_operation_T0_S2_S2_NS_24const_host_device_scalarIT4_EEPKS2_PKT1_PKT2_PT3_21rocsparse_index_base_b
		.amdhsa_group_segment_fixed_size 0
		.amdhsa_private_segment_fixed_size 0
		.amdhsa_kernarg_size 80
		.amdhsa_user_sgpr_count 2
		.amdhsa_user_sgpr_dispatch_ptr 0
		.amdhsa_user_sgpr_queue_ptr 0
		.amdhsa_user_sgpr_kernarg_segment_ptr 1
		.amdhsa_user_sgpr_dispatch_id 0
		.amdhsa_user_sgpr_kernarg_preload_length 0
		.amdhsa_user_sgpr_kernarg_preload_offset 0
		.amdhsa_user_sgpr_private_segment_size 0
		.amdhsa_wavefront_size32 1
		.amdhsa_uses_dynamic_stack 0
		.amdhsa_enable_private_segment 0
		.amdhsa_system_sgpr_workgroup_id_x 1
		.amdhsa_system_sgpr_workgroup_id_y 0
		.amdhsa_system_sgpr_workgroup_id_z 0
		.amdhsa_system_sgpr_workgroup_info 0
		.amdhsa_system_vgpr_workitem_id 0
		.amdhsa_next_free_vgpr 8
		.amdhsa_next_free_sgpr 20
		.amdhsa_named_barrier_count 0
		.amdhsa_reserve_vcc 1
		.amdhsa_float_round_mode_32 0
		.amdhsa_float_round_mode_16_64 0
		.amdhsa_float_denorm_mode_32 3
		.amdhsa_float_denorm_mode_16_64 3
		.amdhsa_fp16_overflow 0
		.amdhsa_memory_ordered 1
		.amdhsa_forward_progress 1
		.amdhsa_inst_pref_size 4
		.amdhsa_round_robin_scheduling 0
		.amdhsa_exception_fp_ieee_invalid_op 0
		.amdhsa_exception_fp_denorm_src 0
		.amdhsa_exception_fp_ieee_div_zero 0
		.amdhsa_exception_fp_ieee_overflow 0
		.amdhsa_exception_fp_ieee_underflow 0
		.amdhsa_exception_fp_ieee_inexact 0
		.amdhsa_exception_int_div_zero 0
	.end_amdhsa_kernel
	.section	.text._ZN9rocsparseL13ellmvt_kernelILj1024ElffffEEv20rocsparse_operation_T0_S2_S2_NS_24const_host_device_scalarIT4_EEPKS2_PKT1_PKT2_PT3_21rocsparse_index_base_b,"axG",@progbits,_ZN9rocsparseL13ellmvt_kernelILj1024ElffffEEv20rocsparse_operation_T0_S2_S2_NS_24const_host_device_scalarIT4_EEPKS2_PKT1_PKT2_PT3_21rocsparse_index_base_b,comdat
.Lfunc_end3:
	.size	_ZN9rocsparseL13ellmvt_kernelILj1024ElffffEEv20rocsparse_operation_T0_S2_S2_NS_24const_host_device_scalarIT4_EEPKS2_PKT1_PKT2_PT3_21rocsparse_index_base_b, .Lfunc_end3-_ZN9rocsparseL13ellmvt_kernelILj1024ElffffEEv20rocsparse_operation_T0_S2_S2_NS_24const_host_device_scalarIT4_EEPKS2_PKT1_PKT2_PT3_21rocsparse_index_base_b
                                        ; -- End function
	.set _ZN9rocsparseL13ellmvt_kernelILj1024ElffffEEv20rocsparse_operation_T0_S2_S2_NS_24const_host_device_scalarIT4_EEPKS2_PKT1_PKT2_PT3_21rocsparse_index_base_b.num_vgpr, 8
	.set _ZN9rocsparseL13ellmvt_kernelILj1024ElffffEEv20rocsparse_operation_T0_S2_S2_NS_24const_host_device_scalarIT4_EEPKS2_PKT1_PKT2_PT3_21rocsparse_index_base_b.num_agpr, 0
	.set _ZN9rocsparseL13ellmvt_kernelILj1024ElffffEEv20rocsparse_operation_T0_S2_S2_NS_24const_host_device_scalarIT4_EEPKS2_PKT1_PKT2_PT3_21rocsparse_index_base_b.numbered_sgpr, 20
	.set _ZN9rocsparseL13ellmvt_kernelILj1024ElffffEEv20rocsparse_operation_T0_S2_S2_NS_24const_host_device_scalarIT4_EEPKS2_PKT1_PKT2_PT3_21rocsparse_index_base_b.num_named_barrier, 0
	.set _ZN9rocsparseL13ellmvt_kernelILj1024ElffffEEv20rocsparse_operation_T0_S2_S2_NS_24const_host_device_scalarIT4_EEPKS2_PKT1_PKT2_PT3_21rocsparse_index_base_b.private_seg_size, 0
	.set _ZN9rocsparseL13ellmvt_kernelILj1024ElffffEEv20rocsparse_operation_T0_S2_S2_NS_24const_host_device_scalarIT4_EEPKS2_PKT1_PKT2_PT3_21rocsparse_index_base_b.uses_vcc, 1
	.set _ZN9rocsparseL13ellmvt_kernelILj1024ElffffEEv20rocsparse_operation_T0_S2_S2_NS_24const_host_device_scalarIT4_EEPKS2_PKT1_PKT2_PT3_21rocsparse_index_base_b.uses_flat_scratch, 0
	.set _ZN9rocsparseL13ellmvt_kernelILj1024ElffffEEv20rocsparse_operation_T0_S2_S2_NS_24const_host_device_scalarIT4_EEPKS2_PKT1_PKT2_PT3_21rocsparse_index_base_b.has_dyn_sized_stack, 0
	.set _ZN9rocsparseL13ellmvt_kernelILj1024ElffffEEv20rocsparse_operation_T0_S2_S2_NS_24const_host_device_scalarIT4_EEPKS2_PKT1_PKT2_PT3_21rocsparse_index_base_b.has_recursion, 0
	.set _ZN9rocsparseL13ellmvt_kernelILj1024ElffffEEv20rocsparse_operation_T0_S2_S2_NS_24const_host_device_scalarIT4_EEPKS2_PKT1_PKT2_PT3_21rocsparse_index_base_b.has_indirect_call, 0
	.section	.AMDGPU.csdata,"",@progbits
; Kernel info:
; codeLenInByte = 408
; TotalNumSgprs: 22
; NumVgprs: 8
; ScratchSize: 0
; MemoryBound: 0
; FloatMode: 240
; IeeeMode: 1
; LDSByteSize: 0 bytes/workgroup (compile time only)
; SGPRBlocks: 0
; VGPRBlocks: 0
; NumSGPRsForWavesPerEU: 22
; NumVGPRsForWavesPerEU: 8
; NamedBarCnt: 0
; Occupancy: 16
; WaveLimiterHint : 1
; COMPUTE_PGM_RSRC2:SCRATCH_EN: 0
; COMPUTE_PGM_RSRC2:USER_SGPR: 2
; COMPUTE_PGM_RSRC2:TRAP_HANDLER: 0
; COMPUTE_PGM_RSRC2:TGID_X_EN: 1
; COMPUTE_PGM_RSRC2:TGID_Y_EN: 0
; COMPUTE_PGM_RSRC2:TGID_Z_EN: 0
; COMPUTE_PGM_RSRC2:TIDIG_COMP_CNT: 0
	.section	.text._ZN9rocsparseL13ellmvn_kernelILj512EiddddEEvT0_S1_S1_NS_24const_host_device_scalarIT4_EEPKS1_PKT1_PKT2_S4_PT3_21rocsparse_index_base_b,"axG",@progbits,_ZN9rocsparseL13ellmvn_kernelILj512EiddddEEvT0_S1_S1_NS_24const_host_device_scalarIT4_EEPKS1_PKT1_PKT2_S4_PT3_21rocsparse_index_base_b,comdat
	.globl	_ZN9rocsparseL13ellmvn_kernelILj512EiddddEEvT0_S1_S1_NS_24const_host_device_scalarIT4_EEPKS1_PKT1_PKT2_S4_PT3_21rocsparse_index_base_b ; -- Begin function _ZN9rocsparseL13ellmvn_kernelILj512EiddddEEvT0_S1_S1_NS_24const_host_device_scalarIT4_EEPKS1_PKT1_PKT2_S4_PT3_21rocsparse_index_base_b
	.p2align	8
	.type	_ZN9rocsparseL13ellmvn_kernelILj512EiddddEEvT0_S1_S1_NS_24const_host_device_scalarIT4_EEPKS1_PKT1_PKT2_S4_PT3_21rocsparse_index_base_b,@function
_ZN9rocsparseL13ellmvn_kernelILj512EiddddEEvT0_S1_S1_NS_24const_host_device_scalarIT4_EEPKS1_PKT1_PKT2_S4_PT3_21rocsparse_index_base_b: ; @_ZN9rocsparseL13ellmvn_kernelILj512EiddddEEvT0_S1_S1_NS_24const_host_device_scalarIT4_EEPKS1_PKT1_PKT2_S4_PT3_21rocsparse_index_base_b
; %bb.0:
	s_clause 0x2
	s_load_b64 s[8:9], s[0:1], 0x40
	s_load_b64 s[4:5], s[0:1], 0x10
	;; [unrolled: 1-line block ×3, first 2 shown]
	s_wait_kmcnt 0x0
	s_bitcmp1_b32 s9, 0
	v_mov_b64_e32 v[2:3], s[4:5]
	s_cselect_b32 s6, -1, 0
	s_delay_alu instid0(SALU_CYCLE_1)
	s_and_b32 vcc_lo, exec_lo, s6
	s_xor_b32 s6, s6, -1
	s_cbranch_vccnz .LBB4_2
; %bb.1:
	v_mov_b32_e32 v1, 0
	flat_load_b64 v[2:3], v1, s[4:5]
.LBB4_2:
	v_mov_b64_e32 v[4:5], s[2:3]
	s_and_not1_b32 vcc_lo, exec_lo, s6
	s_cbranch_vccnz .LBB4_4
; %bb.3:
	s_wait_xcnt 0x0
	v_mov_b32_e32 v1, 0
	flat_load_b64 v[4:5], v1, s[2:3]
.LBB4_4:
	s_wait_loadcnt_dscnt 0x0
	v_cmp_neq_f64_e32 vcc_lo, 0, v[2:3]
	s_delay_alu instid0(VALU_DEP_2) | instskip(SKIP_1) | instid1(SALU_CYCLE_1)
	v_cmp_neq_f64_e64 s2, 1.0, v[4:5]
	s_or_b32 s2, vcc_lo, s2
	s_and_saveexec_b32 s3, s2
	s_cbranch_execz .LBB4_17
; %bb.5:
	s_load_b96 s[4:6], s[0:1], 0x0
	s_bfe_u32 s2, ttmp6, 0x4000c
	s_and_b32 s3, ttmp6, 15
	s_add_co_i32 s2, s2, 1
	s_getreg_b32 s7, hwreg(HW_REG_IB_STS2, 6, 4)
	s_mul_i32 s2, ttmp9, s2
	s_delay_alu instid0(SALU_CYCLE_1) | instskip(SKIP_2) | instid1(SALU_CYCLE_1)
	s_add_co_i32 s3, s3, s2
	s_cmp_eq_u32 s7, 0
	s_cselect_b32 s2, ttmp9, s3
	v_lshl_or_b32 v0, s2, 9, v0
	s_wait_kmcnt 0x0
	s_delay_alu instid0(VALU_DEP_1)
	v_cmp_gt_i32_e32 vcc_lo, s4, v0
	s_and_b32 exec_lo, exec_lo, vcc_lo
	s_cbranch_execz .LBB4_17
; %bb.6:
	s_load_b64 s[2:3], s[0:1], 0x38
	s_cmp_lt_i32 s6, 1
	s_cbranch_scc1 .LBB4_12
; %bb.7:
	s_clause 0x1
	s_load_b128 s[12:15], s[0:1], 0x18
	s_load_b64 s[10:11], s[0:1], 0x28
	v_ashrrev_i32_e32 v1, 31, v0
	s_wait_xcnt 0x0
	s_ashr_i32 s1, s4, 31
	s_mov_b32 s0, s4
	s_add_co_i32 s4, s6, -1
	v_mov_b64_e32 v[6:7], 0
	s_lshl_b64 s[6:7], s[0:1], 2
	s_wait_kmcnt 0x0
	v_lshl_add_u64 v[8:9], v[0:1], 2, s[12:13]
	v_lshl_add_u64 v[10:11], v[0:1], 3, s[14:15]
	v_mov_b32_e32 v1, s4
	s_lshl_b64 s[12:13], s[0:1], 3
	s_mov_b32 s1, 0
	s_branch .LBB4_9
.LBB4_8:                                ;   in Loop: Header=BB4_9 Depth=1
	s_or_b32 exec_lo, exec_lo, s4
	v_sub_co_u32 v1, s4, v1, 1
	v_add_nc_u64_e32 v[8:9], s[6:7], v[8:9]
	v_add_nc_u64_e32 v[10:11], s[12:13], v[10:11]
	s_or_b32 s0, s0, s4
	s_delay_alu instid0(SALU_CYCLE_1) | instskip(NEXT) | instid1(SALU_CYCLE_1)
	s_and_b32 s0, exec_lo, s0
	s_or_b32 s1, s0, s1
	s_delay_alu instid0(SALU_CYCLE_1)
	s_and_not1_b32 exec_lo, exec_lo, s1
	s_cbranch_execz .LBB4_11
.LBB4_9:                                ; =>This Inner Loop Header: Depth=1
	global_load_b32 v12, v[8:9], off th:TH_LOAD_NT
	s_wait_loadcnt 0x0
	v_subrev_nc_u32_e32 v12, s8, v12
	s_delay_alu instid0(VALU_DEP_1) | instskip(SKIP_2) | instid1(SALU_CYCLE_1)
	v_cmp_gt_i32_e32 vcc_lo, 0, v12
	v_cmp_le_i32_e64 s0, s5, v12
	s_or_b32 s0, vcc_lo, s0
	s_xor_b32 s9, s0, -1
	s_delay_alu instid0(SALU_CYCLE_1)
	s_and_saveexec_b32 s4, s9
	s_cbranch_execz .LBB4_8
; %bb.10:                               ;   in Loop: Header=BB4_9 Depth=1
	global_load_b64 v[14:15], v[10:11], off th:TH_LOAD_NT
	global_load_b64 v[16:17], v12, s[10:11] scale_offset
	s_wait_loadcnt 0x0
	v_fmac_f64_e32 v[6:7], v[14:15], v[16:17]
	s_branch .LBB4_8
.LBB4_11:
	s_or_b32 exec_lo, exec_lo, s1
	s_branch .LBB4_13
.LBB4_12:
	v_mov_b64_e32 v[6:7], 0
.LBB4_13:
	s_wait_xcnt 0x0
	s_mov_b32 s0, exec_lo
	v_cmpx_eq_f64_e32 0, v[4:5]
	s_xor_b32 s0, exec_lo, s0
	s_cbranch_execz .LBB4_15
; %bb.14:
	s_delay_alu instid0(VALU_DEP_2)
	v_mul_f64_e32 v[2:3], v[2:3], v[6:7]
                                        ; implicit-def: $vgpr6_vgpr7
                                        ; implicit-def: $vgpr4_vgpr5
	s_wait_kmcnt 0x0
	global_store_b64 v0, v[2:3], s[2:3] scale_offset th:TH_STORE_NT
                                        ; implicit-def: $vgpr0
                                        ; implicit-def: $vgpr2_vgpr3
.LBB4_15:
	s_wait_xcnt 0x0
	s_and_not1_saveexec_b32 s0, s0
	s_cbranch_execz .LBB4_17
; %bb.16:
	s_wait_kmcnt 0x0
	global_load_b64 v[8:9], v0, s[2:3] scale_offset th:TH_LOAD_NT
	v_mul_f64_e32 v[2:3], v[2:3], v[6:7]
	s_wait_loadcnt 0x0
	s_delay_alu instid0(VALU_DEP_1)
	v_fmac_f64_e32 v[2:3], v[4:5], v[8:9]
	global_store_b64 v0, v[2:3], s[2:3] scale_offset th:TH_STORE_NT
.LBB4_17:
	s_endpgm
	.section	.rodata,"a",@progbits
	.p2align	6, 0x0
	.amdhsa_kernel _ZN9rocsparseL13ellmvn_kernelILj512EiddddEEvT0_S1_S1_NS_24const_host_device_scalarIT4_EEPKS1_PKT1_PKT2_S4_PT3_21rocsparse_index_base_b
		.amdhsa_group_segment_fixed_size 0
		.amdhsa_private_segment_fixed_size 0
		.amdhsa_kernarg_size 72
		.amdhsa_user_sgpr_count 2
		.amdhsa_user_sgpr_dispatch_ptr 0
		.amdhsa_user_sgpr_queue_ptr 0
		.amdhsa_user_sgpr_kernarg_segment_ptr 1
		.amdhsa_user_sgpr_dispatch_id 0
		.amdhsa_user_sgpr_kernarg_preload_length 0
		.amdhsa_user_sgpr_kernarg_preload_offset 0
		.amdhsa_user_sgpr_private_segment_size 0
		.amdhsa_wavefront_size32 1
		.amdhsa_uses_dynamic_stack 0
		.amdhsa_enable_private_segment 0
		.amdhsa_system_sgpr_workgroup_id_x 1
		.amdhsa_system_sgpr_workgroup_id_y 0
		.amdhsa_system_sgpr_workgroup_id_z 0
		.amdhsa_system_sgpr_workgroup_info 0
		.amdhsa_system_vgpr_workitem_id 0
		.amdhsa_next_free_vgpr 18
		.amdhsa_next_free_sgpr 16
		.amdhsa_named_barrier_count 0
		.amdhsa_reserve_vcc 1
		.amdhsa_float_round_mode_32 0
		.amdhsa_float_round_mode_16_64 0
		.amdhsa_float_denorm_mode_32 3
		.amdhsa_float_denorm_mode_16_64 3
		.amdhsa_fp16_overflow 0
		.amdhsa_memory_ordered 1
		.amdhsa_forward_progress 1
		.amdhsa_inst_pref_size 5
		.amdhsa_round_robin_scheduling 0
		.amdhsa_exception_fp_ieee_invalid_op 0
		.amdhsa_exception_fp_denorm_src 0
		.amdhsa_exception_fp_ieee_div_zero 0
		.amdhsa_exception_fp_ieee_overflow 0
		.amdhsa_exception_fp_ieee_underflow 0
		.amdhsa_exception_fp_ieee_inexact 0
		.amdhsa_exception_int_div_zero 0
	.end_amdhsa_kernel
	.section	.text._ZN9rocsparseL13ellmvn_kernelILj512EiddddEEvT0_S1_S1_NS_24const_host_device_scalarIT4_EEPKS1_PKT1_PKT2_S4_PT3_21rocsparse_index_base_b,"axG",@progbits,_ZN9rocsparseL13ellmvn_kernelILj512EiddddEEvT0_S1_S1_NS_24const_host_device_scalarIT4_EEPKS1_PKT1_PKT2_S4_PT3_21rocsparse_index_base_b,comdat
.Lfunc_end4:
	.size	_ZN9rocsparseL13ellmvn_kernelILj512EiddddEEvT0_S1_S1_NS_24const_host_device_scalarIT4_EEPKS1_PKT1_PKT2_S4_PT3_21rocsparse_index_base_b, .Lfunc_end4-_ZN9rocsparseL13ellmvn_kernelILj512EiddddEEvT0_S1_S1_NS_24const_host_device_scalarIT4_EEPKS1_PKT1_PKT2_S4_PT3_21rocsparse_index_base_b
                                        ; -- End function
	.set _ZN9rocsparseL13ellmvn_kernelILj512EiddddEEvT0_S1_S1_NS_24const_host_device_scalarIT4_EEPKS1_PKT1_PKT2_S4_PT3_21rocsparse_index_base_b.num_vgpr, 18
	.set _ZN9rocsparseL13ellmvn_kernelILj512EiddddEEvT0_S1_S1_NS_24const_host_device_scalarIT4_EEPKS1_PKT1_PKT2_S4_PT3_21rocsparse_index_base_b.num_agpr, 0
	.set _ZN9rocsparseL13ellmvn_kernelILj512EiddddEEvT0_S1_S1_NS_24const_host_device_scalarIT4_EEPKS1_PKT1_PKT2_S4_PT3_21rocsparse_index_base_b.numbered_sgpr, 16
	.set _ZN9rocsparseL13ellmvn_kernelILj512EiddddEEvT0_S1_S1_NS_24const_host_device_scalarIT4_EEPKS1_PKT1_PKT2_S4_PT3_21rocsparse_index_base_b.num_named_barrier, 0
	.set _ZN9rocsparseL13ellmvn_kernelILj512EiddddEEvT0_S1_S1_NS_24const_host_device_scalarIT4_EEPKS1_PKT1_PKT2_S4_PT3_21rocsparse_index_base_b.private_seg_size, 0
	.set _ZN9rocsparseL13ellmvn_kernelILj512EiddddEEvT0_S1_S1_NS_24const_host_device_scalarIT4_EEPKS1_PKT1_PKT2_S4_PT3_21rocsparse_index_base_b.uses_vcc, 1
	.set _ZN9rocsparseL13ellmvn_kernelILj512EiddddEEvT0_S1_S1_NS_24const_host_device_scalarIT4_EEPKS1_PKT1_PKT2_S4_PT3_21rocsparse_index_base_b.uses_flat_scratch, 0
	.set _ZN9rocsparseL13ellmvn_kernelILj512EiddddEEvT0_S1_S1_NS_24const_host_device_scalarIT4_EEPKS1_PKT1_PKT2_S4_PT3_21rocsparse_index_base_b.has_dyn_sized_stack, 0
	.set _ZN9rocsparseL13ellmvn_kernelILj512EiddddEEvT0_S1_S1_NS_24const_host_device_scalarIT4_EEPKS1_PKT1_PKT2_S4_PT3_21rocsparse_index_base_b.has_recursion, 0
	.set _ZN9rocsparseL13ellmvn_kernelILj512EiddddEEvT0_S1_S1_NS_24const_host_device_scalarIT4_EEPKS1_PKT1_PKT2_S4_PT3_21rocsparse_index_base_b.has_indirect_call, 0
	.section	.AMDGPU.csdata,"",@progbits
; Kernel info:
; codeLenInByte = 572
; TotalNumSgprs: 18
; NumVgprs: 18
; ScratchSize: 0
; MemoryBound: 1
; FloatMode: 240
; IeeeMode: 1
; LDSByteSize: 0 bytes/workgroup (compile time only)
; SGPRBlocks: 0
; VGPRBlocks: 1
; NumSGPRsForWavesPerEU: 18
; NumVGPRsForWavesPerEU: 18
; NamedBarCnt: 0
; Occupancy: 16
; WaveLimiterHint : 1
; COMPUTE_PGM_RSRC2:SCRATCH_EN: 0
; COMPUTE_PGM_RSRC2:USER_SGPR: 2
; COMPUTE_PGM_RSRC2:TRAP_HANDLER: 0
; COMPUTE_PGM_RSRC2:TGID_X_EN: 1
; COMPUTE_PGM_RSRC2:TGID_Y_EN: 0
; COMPUTE_PGM_RSRC2:TGID_Z_EN: 0
; COMPUTE_PGM_RSRC2:TIDIG_COMP_CNT: 0
	.section	.text._ZN9rocsparseL13ellmvt_kernelILj1024EiddddEEv20rocsparse_operation_T0_S2_S2_NS_24const_host_device_scalarIT4_EEPKS2_PKT1_PKT2_PT3_21rocsparse_index_base_b,"axG",@progbits,_ZN9rocsparseL13ellmvt_kernelILj1024EiddddEEv20rocsparse_operation_T0_S2_S2_NS_24const_host_device_scalarIT4_EEPKS2_PKT1_PKT2_PT3_21rocsparse_index_base_b,comdat
	.globl	_ZN9rocsparseL13ellmvt_kernelILj1024EiddddEEv20rocsparse_operation_T0_S2_S2_NS_24const_host_device_scalarIT4_EEPKS2_PKT1_PKT2_PT3_21rocsparse_index_base_b ; -- Begin function _ZN9rocsparseL13ellmvt_kernelILj1024EiddddEEv20rocsparse_operation_T0_S2_S2_NS_24const_host_device_scalarIT4_EEPKS2_PKT1_PKT2_PT3_21rocsparse_index_base_b
	.p2align	8
	.type	_ZN9rocsparseL13ellmvt_kernelILj1024EiddddEEv20rocsparse_operation_T0_S2_S2_NS_24const_host_device_scalarIT4_EEPKS2_PKT1_PKT2_PT3_21rocsparse_index_base_b,@function
_ZN9rocsparseL13ellmvt_kernelILj1024EiddddEEv20rocsparse_operation_T0_S2_S2_NS_24const_host_device_scalarIT4_EEPKS2_PKT1_PKT2_PT3_21rocsparse_index_base_b: ; @_ZN9rocsparseL13ellmvt_kernelILj1024EiddddEEv20rocsparse_operation_T0_S2_S2_NS_24const_host_device_scalarIT4_EEPKS2_PKT1_PKT2_PT3_21rocsparse_index_base_b
; %bb.0:
	s_clause 0x1
	s_load_b64 s[2:3], s[0:1], 0x38
	s_load_b64 s[4:5], s[0:1], 0x10
	s_wait_kmcnt 0x0
	s_bitcmp1_b32 s3, 0
	v_mov_b64_e32 v[2:3], s[4:5]
	s_cselect_b32 s3, -1, 0
	s_delay_alu instid0(SALU_CYCLE_1)
	s_and_b32 vcc_lo, exec_lo, s3
	s_cbranch_vccnz .LBB5_2
; %bb.1:
	v_mov_b32_e32 v1, 0
	flat_load_b64 v[2:3], v1, s[4:5]
.LBB5_2:
	s_mov_b32 s3, exec_lo
	s_wait_loadcnt_dscnt 0x0
	s_delay_alu instid0(VALU_DEP_1)
	v_cmpx_neq_f64_e32 0, v[2:3]
	s_cbranch_execz .LBB5_9
; %bb.3:
	s_load_b96 s[12:14], s[0:1], 0x4
	s_bfe_u32 s3, ttmp6, 0x4000c
	s_and_b32 s4, ttmp6, 15
	s_add_co_i32 s3, s3, 1
	s_getreg_b32 s5, hwreg(HW_REG_IB_STS2, 6, 4)
	s_mul_i32 s3, ttmp9, s3
	s_delay_alu instid0(SALU_CYCLE_1) | instskip(SKIP_2) | instid1(SALU_CYCLE_1)
	s_add_co_i32 s4, s4, s3
	s_cmp_eq_u32 s5, 0
	s_cselect_b32 s3, ttmp9, s4
	v_lshl_or_b32 v4, s3, 10, v0
	s_wait_kmcnt 0x0
	s_delay_alu instid0(VALU_DEP_1)
	v_cmp_gt_i32_e32 vcc_lo, s12, v4
	s_and_b32 exec_lo, exec_lo, vcc_lo
	s_cbranch_execz .LBB5_9
; %bb.4:
	s_cmp_lt_i32 s14, 1
	s_cbranch_scc1 .LBB5_9
; %bb.5:
	s_load_b256 s[4:11], s[0:1], 0x18
	v_ashrrev_i32_e32 v5, 31, v4
	s_wait_xcnt 0x0
	s_ashr_i32 s1, s12, 31
	s_mov_b32 s0, s12
                                        ; implicit-def: $sgpr3
	s_wait_kmcnt 0x0
	global_load_b64 v[0:1], v4, s[8:9] scale_offset
	s_wait_loadcnt 0x0
	v_mul_f64_e32 v[0:1], v[2:3], v[0:1]
	v_lshl_add_u64 v[2:3], v[4:5], 2, s[4:5]
	v_lshl_add_u64 v[4:5], v[4:5], 3, s[6:7]
	s_lshl_b64 s[4:5], s[0:1], 2
	s_lshl_b64 s[6:7], s[0:1], 3
	s_mov_b32 s1, 0
	s_branch .LBB5_7
.LBB5_6:                                ;   in Loop: Header=BB5_7 Depth=1
	s_wait_xcnt 0x0
	s_or_b32 exec_lo, exec_lo, s0
	s_delay_alu instid0(SALU_CYCLE_1) | instskip(NEXT) | instid1(SALU_CYCLE_1)
	s_and_b32 s0, exec_lo, s3
	s_or_b32 s1, s0, s1
	s_delay_alu instid0(SALU_CYCLE_1)
	s_and_not1_b32 exec_lo, exec_lo, s1
	s_cbranch_execz .LBB5_9
.LBB5_7:                                ; =>This Inner Loop Header: Depth=1
	global_load_b32 v6, v[2:3], off th:TH_LOAD_NT
	s_or_b32 s3, s3, exec_lo
	s_wait_loadcnt 0x0
	v_subrev_nc_u32_e32 v6, s2, v6
	s_delay_alu instid0(VALU_DEP_1)
	v_cmp_lt_i32_e32 vcc_lo, -1, v6
	v_cmp_gt_i32_e64 s0, s13, v6
	s_and_b32 s8, vcc_lo, s0
	s_wait_xcnt 0x0
	s_and_saveexec_b32 s0, s8
	s_cbranch_execz .LBB5_6
; %bb.8:                                ;   in Loop: Header=BB5_7 Depth=1
	global_load_b64 v[8:9], v[4:5], off th:TH_LOAD_NT
	s_add_co_i32 s14, s14, -1
	v_add_nc_u64_e32 v[2:3], s[4:5], v[2:3]
	s_cmp_eq_u32 s14, 0
	s_wait_xcnt 0x0
	v_add_nc_u64_e32 v[4:5], s[6:7], v[4:5]
	s_cselect_b32 s8, -1, 0
	s_and_not1_b32 s3, s3, exec_lo
	s_and_b32 s8, s8, exec_lo
	s_delay_alu instid0(SALU_CYCLE_1)
	s_or_b32 s3, s3, s8
	s_wait_loadcnt 0x0
	v_mul_f64_e32 v[8:9], v[0:1], v[8:9]
	global_atomic_add_f64 v6, v[8:9], s[10:11] scale_offset scope:SCOPE_DEV
	s_branch .LBB5_6
.LBB5_9:
	s_endpgm
	.section	.rodata,"a",@progbits
	.p2align	6, 0x0
	.amdhsa_kernel _ZN9rocsparseL13ellmvt_kernelILj1024EiddddEEv20rocsparse_operation_T0_S2_S2_NS_24const_host_device_scalarIT4_EEPKS2_PKT1_PKT2_PT3_21rocsparse_index_base_b
		.amdhsa_group_segment_fixed_size 0
		.amdhsa_private_segment_fixed_size 0
		.amdhsa_kernarg_size 64
		.amdhsa_user_sgpr_count 2
		.amdhsa_user_sgpr_dispatch_ptr 0
		.amdhsa_user_sgpr_queue_ptr 0
		.amdhsa_user_sgpr_kernarg_segment_ptr 1
		.amdhsa_user_sgpr_dispatch_id 0
		.amdhsa_user_sgpr_kernarg_preload_length 0
		.amdhsa_user_sgpr_kernarg_preload_offset 0
		.amdhsa_user_sgpr_private_segment_size 0
		.amdhsa_wavefront_size32 1
		.amdhsa_uses_dynamic_stack 0
		.amdhsa_enable_private_segment 0
		.amdhsa_system_sgpr_workgroup_id_x 1
		.amdhsa_system_sgpr_workgroup_id_y 0
		.amdhsa_system_sgpr_workgroup_id_z 0
		.amdhsa_system_sgpr_workgroup_info 0
		.amdhsa_system_vgpr_workitem_id 0
		.amdhsa_next_free_vgpr 10
		.amdhsa_next_free_sgpr 15
		.amdhsa_named_barrier_count 0
		.amdhsa_reserve_vcc 1
		.amdhsa_float_round_mode_32 0
		.amdhsa_float_round_mode_16_64 0
		.amdhsa_float_denorm_mode_32 3
		.amdhsa_float_denorm_mode_16_64 3
		.amdhsa_fp16_overflow 0
		.amdhsa_memory_ordered 1
		.amdhsa_forward_progress 1
		.amdhsa_inst_pref_size 4
		.amdhsa_round_robin_scheduling 0
		.amdhsa_exception_fp_ieee_invalid_op 0
		.amdhsa_exception_fp_denorm_src 0
		.amdhsa_exception_fp_ieee_div_zero 0
		.amdhsa_exception_fp_ieee_overflow 0
		.amdhsa_exception_fp_ieee_underflow 0
		.amdhsa_exception_fp_ieee_inexact 0
		.amdhsa_exception_int_div_zero 0
	.end_amdhsa_kernel
	.section	.text._ZN9rocsparseL13ellmvt_kernelILj1024EiddddEEv20rocsparse_operation_T0_S2_S2_NS_24const_host_device_scalarIT4_EEPKS2_PKT1_PKT2_PT3_21rocsparse_index_base_b,"axG",@progbits,_ZN9rocsparseL13ellmvt_kernelILj1024EiddddEEv20rocsparse_operation_T0_S2_S2_NS_24const_host_device_scalarIT4_EEPKS2_PKT1_PKT2_PT3_21rocsparse_index_base_b,comdat
.Lfunc_end5:
	.size	_ZN9rocsparseL13ellmvt_kernelILj1024EiddddEEv20rocsparse_operation_T0_S2_S2_NS_24const_host_device_scalarIT4_EEPKS2_PKT1_PKT2_PT3_21rocsparse_index_base_b, .Lfunc_end5-_ZN9rocsparseL13ellmvt_kernelILj1024EiddddEEv20rocsparse_operation_T0_S2_S2_NS_24const_host_device_scalarIT4_EEPKS2_PKT1_PKT2_PT3_21rocsparse_index_base_b
                                        ; -- End function
	.set _ZN9rocsparseL13ellmvt_kernelILj1024EiddddEEv20rocsparse_operation_T0_S2_S2_NS_24const_host_device_scalarIT4_EEPKS2_PKT1_PKT2_PT3_21rocsparse_index_base_b.num_vgpr, 10
	.set _ZN9rocsparseL13ellmvt_kernelILj1024EiddddEEv20rocsparse_operation_T0_S2_S2_NS_24const_host_device_scalarIT4_EEPKS2_PKT1_PKT2_PT3_21rocsparse_index_base_b.num_agpr, 0
	.set _ZN9rocsparseL13ellmvt_kernelILj1024EiddddEEv20rocsparse_operation_T0_S2_S2_NS_24const_host_device_scalarIT4_EEPKS2_PKT1_PKT2_PT3_21rocsparse_index_base_b.numbered_sgpr, 15
	.set _ZN9rocsparseL13ellmvt_kernelILj1024EiddddEEv20rocsparse_operation_T0_S2_S2_NS_24const_host_device_scalarIT4_EEPKS2_PKT1_PKT2_PT3_21rocsparse_index_base_b.num_named_barrier, 0
	.set _ZN9rocsparseL13ellmvt_kernelILj1024EiddddEEv20rocsparse_operation_T0_S2_S2_NS_24const_host_device_scalarIT4_EEPKS2_PKT1_PKT2_PT3_21rocsparse_index_base_b.private_seg_size, 0
	.set _ZN9rocsparseL13ellmvt_kernelILj1024EiddddEEv20rocsparse_operation_T0_S2_S2_NS_24const_host_device_scalarIT4_EEPKS2_PKT1_PKT2_PT3_21rocsparse_index_base_b.uses_vcc, 1
	.set _ZN9rocsparseL13ellmvt_kernelILj1024EiddddEEv20rocsparse_operation_T0_S2_S2_NS_24const_host_device_scalarIT4_EEPKS2_PKT1_PKT2_PT3_21rocsparse_index_base_b.uses_flat_scratch, 0
	.set _ZN9rocsparseL13ellmvt_kernelILj1024EiddddEEv20rocsparse_operation_T0_S2_S2_NS_24const_host_device_scalarIT4_EEPKS2_PKT1_PKT2_PT3_21rocsparse_index_base_b.has_dyn_sized_stack, 0
	.set _ZN9rocsparseL13ellmvt_kernelILj1024EiddddEEv20rocsparse_operation_T0_S2_S2_NS_24const_host_device_scalarIT4_EEPKS2_PKT1_PKT2_PT3_21rocsparse_index_base_b.has_recursion, 0
	.set _ZN9rocsparseL13ellmvt_kernelILj1024EiddddEEv20rocsparse_operation_T0_S2_S2_NS_24const_host_device_scalarIT4_EEPKS2_PKT1_PKT2_PT3_21rocsparse_index_base_b.has_indirect_call, 0
	.section	.AMDGPU.csdata,"",@progbits
; Kernel info:
; codeLenInByte = 416
; TotalNumSgprs: 17
; NumVgprs: 10
; ScratchSize: 0
; MemoryBound: 0
; FloatMode: 240
; IeeeMode: 1
; LDSByteSize: 0 bytes/workgroup (compile time only)
; SGPRBlocks: 0
; VGPRBlocks: 0
; NumSGPRsForWavesPerEU: 17
; NumVGPRsForWavesPerEU: 10
; NamedBarCnt: 0
; Occupancy: 16
; WaveLimiterHint : 1
; COMPUTE_PGM_RSRC2:SCRATCH_EN: 0
; COMPUTE_PGM_RSRC2:USER_SGPR: 2
; COMPUTE_PGM_RSRC2:TRAP_HANDLER: 0
; COMPUTE_PGM_RSRC2:TGID_X_EN: 1
; COMPUTE_PGM_RSRC2:TGID_Y_EN: 0
; COMPUTE_PGM_RSRC2:TGID_Z_EN: 0
; COMPUTE_PGM_RSRC2:TIDIG_COMP_CNT: 0
	.section	.text._ZN9rocsparseL13ellmvn_kernelILj512ElddddEEvT0_S1_S1_NS_24const_host_device_scalarIT4_EEPKS1_PKT1_PKT2_S4_PT3_21rocsparse_index_base_b,"axG",@progbits,_ZN9rocsparseL13ellmvn_kernelILj512ElddddEEvT0_S1_S1_NS_24const_host_device_scalarIT4_EEPKS1_PKT1_PKT2_S4_PT3_21rocsparse_index_base_b,comdat
	.globl	_ZN9rocsparseL13ellmvn_kernelILj512ElddddEEvT0_S1_S1_NS_24const_host_device_scalarIT4_EEPKS1_PKT1_PKT2_S4_PT3_21rocsparse_index_base_b ; -- Begin function _ZN9rocsparseL13ellmvn_kernelILj512ElddddEEvT0_S1_S1_NS_24const_host_device_scalarIT4_EEPKS1_PKT1_PKT2_S4_PT3_21rocsparse_index_base_b
	.p2align	8
	.type	_ZN9rocsparseL13ellmvn_kernelILj512ElddddEEvT0_S1_S1_NS_24const_host_device_scalarIT4_EEPKS1_PKT1_PKT2_S4_PT3_21rocsparse_index_base_b,@function
_ZN9rocsparseL13ellmvn_kernelILj512ElddddEEvT0_S1_S1_NS_24const_host_device_scalarIT4_EEPKS1_PKT1_PKT2_S4_PT3_21rocsparse_index_base_b: ; @_ZN9rocsparseL13ellmvn_kernelILj512ElddddEEvT0_S1_S1_NS_24const_host_device_scalarIT4_EEPKS1_PKT1_PKT2_S4_PT3_21rocsparse_index_base_b
; %bb.0:
	s_clause 0x2
	s_load_b64 s[16:17], s[0:1], 0x48
	s_load_b256 s[4:11], s[0:1], 0x0
	s_load_b64 s[2:3], s[0:1], 0x38
	s_wait_kmcnt 0x0
	s_bitcmp1_b32 s17, 0
	v_mov_b64_e32 v[2:3], s[10:11]
	s_cselect_b32 s12, -1, 0
	s_delay_alu instid0(SALU_CYCLE_1)
	s_and_b32 vcc_lo, exec_lo, s12
	s_xor_b32 s12, s12, -1
	s_cbranch_vccnz .LBB6_2
; %bb.1:
	v_mov_b32_e32 v1, 0
	flat_load_b64 v[2:3], v1, s[10:11]
.LBB6_2:
	v_mov_b64_e32 v[4:5], s[2:3]
	s_and_not1_b32 vcc_lo, exec_lo, s12
	s_cbranch_vccnz .LBB6_4
; %bb.3:
	s_wait_xcnt 0x0
	v_mov_b32_e32 v1, 0
	flat_load_b64 v[4:5], v1, s[2:3]
.LBB6_4:
	s_wait_loadcnt_dscnt 0x0
	v_cmp_neq_f64_e32 vcc_lo, 0, v[2:3]
	s_delay_alu instid0(VALU_DEP_2) | instskip(SKIP_1) | instid1(SALU_CYCLE_1)
	v_cmp_neq_f64_e64 s2, 1.0, v[4:5]
	s_or_b32 s2, vcc_lo, s2
	s_and_saveexec_b32 s3, s2
	s_cbranch_execz .LBB6_17
; %bb.5:
	s_bfe_u32 s2, ttmp6, 0x4000c
	s_and_b32 s3, ttmp6, 15
	s_add_co_i32 s2, s2, 1
	s_getreg_b32 s10, hwreg(HW_REG_IB_STS2, 6, 4)
	s_mul_i32 s2, ttmp9, s2
	v_mov_b32_e32 v1, 0
	s_add_co_i32 s3, s3, s2
	s_cmp_eq_u32 s10, 0
	s_cselect_b32 s2, ttmp9, s3
	s_delay_alu instid0(SALU_CYCLE_1) | instskip(NEXT) | instid1(VALU_DEP_1)
	v_lshl_or_b32 v0, s2, 9, v0
	v_cmp_gt_i64_e32 vcc_lo, s[4:5], v[0:1]
	s_and_b32 exec_lo, exec_lo, vcc_lo
	s_cbranch_execz .LBB6_17
; %bb.6:
	v_cmp_lt_i64_e64 s2, s[8:9], 1
	s_and_b32 vcc_lo, exec_lo, s2
	s_cbranch_vccnz .LBB6_12
; %bb.7:
	s_clause 0x1
	s_load_b128 s[12:15], s[0:1], 0x20
	s_load_b64 s[10:11], s[0:1], 0x30
	v_lshlrev_b64_e32 v[8:9], 3, v[0:1]
	v_mov_b64_e32 v[6:7], 0
	s_mov_b32 s17, 0
	s_add_nc_u64 s[8:9], s[8:9], -1
	s_lshl_b64 s[4:5], s[4:5], 3
	s_mov_b32 s3, s17
	s_branch .LBB6_9
.LBB6_8:                                ;   in Loop: Header=BB6_9 Depth=1
	s_or_b32 exec_lo, exec_lo, s18
	s_cmp_eq_u64 s[8:9], 0
	v_add_nc_u64_e32 v[8:9], s[4:5], v[8:9]
	s_cselect_b32 s18, -1, 0
	s_add_nc_u64 s[8:9], s[8:9], -1
	s_or_b32 s2, s2, s18
	s_delay_alu instid0(SALU_CYCLE_1) | instskip(NEXT) | instid1(SALU_CYCLE_1)
	s_and_b32 s2, exec_lo, s2
	s_or_b32 s3, s2, s3
	s_delay_alu instid0(SALU_CYCLE_1)
	s_and_not1_b32 exec_lo, exec_lo, s3
	s_cbranch_execz .LBB6_11
.LBB6_9:                                ; =>This Inner Loop Header: Depth=1
	s_wait_kmcnt 0x0
	v_add_nc_u64_e32 v[10:11], s[12:13], v[8:9]
	global_load_b64 v[10:11], v[10:11], off th:TH_LOAD_NT
	s_wait_loadcnt 0x0
	v_sub_nc_u64_e64 v[10:11], v[10:11], s[16:17]
	s_delay_alu instid0(VALU_DEP_1) | instskip(SKIP_2) | instid1(SALU_CYCLE_1)
	v_cmp_gt_i64_e32 vcc_lo, 0, v[10:11]
	v_cmp_le_i64_e64 s2, s[6:7], v[10:11]
	s_or_b32 s2, vcc_lo, s2
	s_xor_b32 s19, s2, -1
	s_delay_alu instid0(SALU_CYCLE_1)
	s_and_saveexec_b32 s18, s19
	s_cbranch_execz .LBB6_8
; %bb.10:                               ;   in Loop: Header=BB6_9 Depth=1
	v_add_nc_u64_e32 v[12:13], s[14:15], v[8:9]
	v_lshl_add_u64 v[10:11], v[10:11], 3, s[10:11]
	global_load_b64 v[14:15], v[12:13], off th:TH_LOAD_NT
	global_load_b64 v[16:17], v[10:11], off
	s_wait_loadcnt 0x0
	v_fmac_f64_e32 v[6:7], v[14:15], v[16:17]
	s_branch .LBB6_8
.LBB6_11:
	s_or_b32 exec_lo, exec_lo, s3
	s_branch .LBB6_13
.LBB6_12:
	v_mov_b64_e32 v[6:7], 0
.LBB6_13:
	s_load_b64 s[0:1], s[0:1], 0x40
	s_mov_b32 s2, exec_lo
	v_cmpx_eq_f64_e32 0, v[4:5]
	s_xor_b32 s2, exec_lo, s2
	s_cbranch_execz .LBB6_15
; %bb.14:
	s_delay_alu instid0(VALU_DEP_2)
	v_mul_f64_e32 v[2:3], v[2:3], v[6:7]
	s_wait_kmcnt 0x0
	v_lshl_add_u64 v[0:1], v[0:1], 3, s[0:1]
                                        ; implicit-def: $vgpr6_vgpr7
                                        ; implicit-def: $vgpr4_vgpr5
	global_store_b64 v[0:1], v[2:3], off th:TH_STORE_NT
                                        ; implicit-def: $vgpr0_vgpr1
                                        ; implicit-def: $vgpr2_vgpr3
.LBB6_15:
	s_wait_xcnt 0x0
	s_and_not1_saveexec_b32 s2, s2
	s_cbranch_execz .LBB6_17
; %bb.16:
	s_wait_kmcnt 0x0
	v_lshl_add_u64 v[0:1], v[0:1], 3, s[0:1]
	s_delay_alu instid0(VALU_DEP_3)
	v_mul_f64_e32 v[2:3], v[2:3], v[6:7]
	global_load_b64 v[8:9], v[0:1], off th:TH_LOAD_NT
	s_wait_loadcnt 0x0
	v_fmac_f64_e32 v[2:3], v[4:5], v[8:9]
	global_store_b64 v[0:1], v[2:3], off th:TH_STORE_NT
.LBB6_17:
	s_endpgm
	.section	.rodata,"a",@progbits
	.p2align	6, 0x0
	.amdhsa_kernel _ZN9rocsparseL13ellmvn_kernelILj512ElddddEEvT0_S1_S1_NS_24const_host_device_scalarIT4_EEPKS1_PKT1_PKT2_S4_PT3_21rocsparse_index_base_b
		.amdhsa_group_segment_fixed_size 0
		.amdhsa_private_segment_fixed_size 0
		.amdhsa_kernarg_size 80
		.amdhsa_user_sgpr_count 2
		.amdhsa_user_sgpr_dispatch_ptr 0
		.amdhsa_user_sgpr_queue_ptr 0
		.amdhsa_user_sgpr_kernarg_segment_ptr 1
		.amdhsa_user_sgpr_dispatch_id 0
		.amdhsa_user_sgpr_kernarg_preload_length 0
		.amdhsa_user_sgpr_kernarg_preload_offset 0
		.amdhsa_user_sgpr_private_segment_size 0
		.amdhsa_wavefront_size32 1
		.amdhsa_uses_dynamic_stack 0
		.amdhsa_enable_private_segment 0
		.amdhsa_system_sgpr_workgroup_id_x 1
		.amdhsa_system_sgpr_workgroup_id_y 0
		.amdhsa_system_sgpr_workgroup_id_z 0
		.amdhsa_system_sgpr_workgroup_info 0
		.amdhsa_system_vgpr_workitem_id 0
		.amdhsa_next_free_vgpr 18
		.amdhsa_next_free_sgpr 20
		.amdhsa_named_barrier_count 0
		.amdhsa_reserve_vcc 1
		.amdhsa_float_round_mode_32 0
		.amdhsa_float_round_mode_16_64 0
		.amdhsa_float_denorm_mode_32 3
		.amdhsa_float_denorm_mode_16_64 3
		.amdhsa_fp16_overflow 0
		.amdhsa_memory_ordered 1
		.amdhsa_forward_progress 1
		.amdhsa_inst_pref_size 5
		.amdhsa_round_robin_scheduling 0
		.amdhsa_exception_fp_ieee_invalid_op 0
		.amdhsa_exception_fp_denorm_src 0
		.amdhsa_exception_fp_ieee_div_zero 0
		.amdhsa_exception_fp_ieee_overflow 0
		.amdhsa_exception_fp_ieee_underflow 0
		.amdhsa_exception_fp_ieee_inexact 0
		.amdhsa_exception_int_div_zero 0
	.end_amdhsa_kernel
	.section	.text._ZN9rocsparseL13ellmvn_kernelILj512ElddddEEvT0_S1_S1_NS_24const_host_device_scalarIT4_EEPKS1_PKT1_PKT2_S4_PT3_21rocsparse_index_base_b,"axG",@progbits,_ZN9rocsparseL13ellmvn_kernelILj512ElddddEEvT0_S1_S1_NS_24const_host_device_scalarIT4_EEPKS1_PKT1_PKT2_S4_PT3_21rocsparse_index_base_b,comdat
.Lfunc_end6:
	.size	_ZN9rocsparseL13ellmvn_kernelILj512ElddddEEvT0_S1_S1_NS_24const_host_device_scalarIT4_EEPKS1_PKT1_PKT2_S4_PT3_21rocsparse_index_base_b, .Lfunc_end6-_ZN9rocsparseL13ellmvn_kernelILj512ElddddEEvT0_S1_S1_NS_24const_host_device_scalarIT4_EEPKS1_PKT1_PKT2_S4_PT3_21rocsparse_index_base_b
                                        ; -- End function
	.set _ZN9rocsparseL13ellmvn_kernelILj512ElddddEEvT0_S1_S1_NS_24const_host_device_scalarIT4_EEPKS1_PKT1_PKT2_S4_PT3_21rocsparse_index_base_b.num_vgpr, 18
	.set _ZN9rocsparseL13ellmvn_kernelILj512ElddddEEvT0_S1_S1_NS_24const_host_device_scalarIT4_EEPKS1_PKT1_PKT2_S4_PT3_21rocsparse_index_base_b.num_agpr, 0
	.set _ZN9rocsparseL13ellmvn_kernelILj512ElddddEEvT0_S1_S1_NS_24const_host_device_scalarIT4_EEPKS1_PKT1_PKT2_S4_PT3_21rocsparse_index_base_b.numbered_sgpr, 20
	.set _ZN9rocsparseL13ellmvn_kernelILj512ElddddEEvT0_S1_S1_NS_24const_host_device_scalarIT4_EEPKS1_PKT1_PKT2_S4_PT3_21rocsparse_index_base_b.num_named_barrier, 0
	.set _ZN9rocsparseL13ellmvn_kernelILj512ElddddEEvT0_S1_S1_NS_24const_host_device_scalarIT4_EEPKS1_PKT1_PKT2_S4_PT3_21rocsparse_index_base_b.private_seg_size, 0
	.set _ZN9rocsparseL13ellmvn_kernelILj512ElddddEEvT0_S1_S1_NS_24const_host_device_scalarIT4_EEPKS1_PKT1_PKT2_S4_PT3_21rocsparse_index_base_b.uses_vcc, 1
	.set _ZN9rocsparseL13ellmvn_kernelILj512ElddddEEvT0_S1_S1_NS_24const_host_device_scalarIT4_EEPKS1_PKT1_PKT2_S4_PT3_21rocsparse_index_base_b.uses_flat_scratch, 0
	.set _ZN9rocsparseL13ellmvn_kernelILj512ElddddEEvT0_S1_S1_NS_24const_host_device_scalarIT4_EEPKS1_PKT1_PKT2_S4_PT3_21rocsparse_index_base_b.has_dyn_sized_stack, 0
	.set _ZN9rocsparseL13ellmvn_kernelILj512ElddddEEvT0_S1_S1_NS_24const_host_device_scalarIT4_EEPKS1_PKT1_PKT2_S4_PT3_21rocsparse_index_base_b.has_recursion, 0
	.set _ZN9rocsparseL13ellmvn_kernelILj512ElddddEEvT0_S1_S1_NS_24const_host_device_scalarIT4_EEPKS1_PKT1_PKT2_S4_PT3_21rocsparse_index_base_b.has_indirect_call, 0
	.section	.AMDGPU.csdata,"",@progbits
; Kernel info:
; codeLenInByte = 568
; TotalNumSgprs: 22
; NumVgprs: 18
; ScratchSize: 0
; MemoryBound: 1
; FloatMode: 240
; IeeeMode: 1
; LDSByteSize: 0 bytes/workgroup (compile time only)
; SGPRBlocks: 0
; VGPRBlocks: 1
; NumSGPRsForWavesPerEU: 22
; NumVGPRsForWavesPerEU: 18
; NamedBarCnt: 0
; Occupancy: 16
; WaveLimiterHint : 1
; COMPUTE_PGM_RSRC2:SCRATCH_EN: 0
; COMPUTE_PGM_RSRC2:USER_SGPR: 2
; COMPUTE_PGM_RSRC2:TRAP_HANDLER: 0
; COMPUTE_PGM_RSRC2:TGID_X_EN: 1
; COMPUTE_PGM_RSRC2:TGID_Y_EN: 0
; COMPUTE_PGM_RSRC2:TGID_Z_EN: 0
; COMPUTE_PGM_RSRC2:TIDIG_COMP_CNT: 0
	.section	.text._ZN9rocsparseL13ellmvt_kernelILj1024ElddddEEv20rocsparse_operation_T0_S2_S2_NS_24const_host_device_scalarIT4_EEPKS2_PKT1_PKT2_PT3_21rocsparse_index_base_b,"axG",@progbits,_ZN9rocsparseL13ellmvt_kernelILj1024ElddddEEv20rocsparse_operation_T0_S2_S2_NS_24const_host_device_scalarIT4_EEPKS2_PKT1_PKT2_PT3_21rocsparse_index_base_b,comdat
	.globl	_ZN9rocsparseL13ellmvt_kernelILj1024ElddddEEv20rocsparse_operation_T0_S2_S2_NS_24const_host_device_scalarIT4_EEPKS2_PKT1_PKT2_PT3_21rocsparse_index_base_b ; -- Begin function _ZN9rocsparseL13ellmvt_kernelILj1024ElddddEEv20rocsparse_operation_T0_S2_S2_NS_24const_host_device_scalarIT4_EEPKS2_PKT1_PKT2_PT3_21rocsparse_index_base_b
	.p2align	8
	.type	_ZN9rocsparseL13ellmvt_kernelILj1024ElddddEEv20rocsparse_operation_T0_S2_S2_NS_24const_host_device_scalarIT4_EEPKS2_PKT1_PKT2_PT3_21rocsparse_index_base_b,@function
_ZN9rocsparseL13ellmvt_kernelILj1024ElddddEEv20rocsparse_operation_T0_S2_S2_NS_24const_host_device_scalarIT4_EEPKS2_PKT1_PKT2_PT3_21rocsparse_index_base_b: ; @_ZN9rocsparseL13ellmvt_kernelILj1024ElddddEEv20rocsparse_operation_T0_S2_S2_NS_24const_host_device_scalarIT4_EEPKS2_PKT1_PKT2_PT3_21rocsparse_index_base_b
; %bb.0:
	s_clause 0x1
	s_load_b64 s[2:3], s[0:1], 0x48
	s_load_b256 s[4:11], s[0:1], 0x8
	s_wait_kmcnt 0x0
	s_bitcmp1_b32 s3, 0
	v_mov_b64_e32 v[2:3], s[10:11]
	s_cselect_b32 s3, -1, 0
	s_delay_alu instid0(SALU_CYCLE_1)
	s_and_b32 vcc_lo, exec_lo, s3
	s_cbranch_vccnz .LBB7_2
; %bb.1:
	v_mov_b32_e32 v1, 0
	flat_load_b64 v[2:3], v1, s[10:11]
.LBB7_2:
	s_mov_b32 s3, exec_lo
	s_wait_loadcnt_dscnt 0x0
	s_delay_alu instid0(VALU_DEP_1)
	v_cmpx_neq_f64_e32 0, v[2:3]
	s_cbranch_execz .LBB7_9
; %bb.3:
	s_bfe_u32 s3, ttmp6, 0x4000c
	s_and_b32 s10, ttmp6, 15
	s_add_co_i32 s3, s3, 1
	s_getreg_b32 s11, hwreg(HW_REG_IB_STS2, 6, 4)
	s_mul_i32 s3, ttmp9, s3
	v_mov_b32_e32 v1, 0
	s_add_co_i32 s10, s10, s3
	s_cmp_eq_u32 s11, 0
	s_cselect_b32 s3, ttmp9, s10
	s_delay_alu instid0(SALU_CYCLE_1) | instskip(NEXT) | instid1(VALU_DEP_1)
	v_lshl_or_b32 v0, s3, 10, v0
	v_cmp_gt_i64_e32 vcc_lo, s[4:5], v[0:1]
	s_and_b32 exec_lo, exec_lo, vcc_lo
	s_cbranch_execz .LBB7_9
; %bb.4:
	v_cmp_lt_i64_e64 s3, s[8:9], 1
	s_and_b32 vcc_lo, exec_lo, s3
	s_cbranch_vccnz .LBB7_9
; %bb.5:
	s_load_b256 s[12:19], s[0:1], 0x28
	v_lshlrev_b64_e32 v[0:1], 3, v[0:1]
	s_mov_b32 s3, 0
	s_lshl_b64 s[4:5], s[4:5], 3
	s_wait_xcnt 0x0
	s_mov_b32 s1, s3
                                        ; implicit-def: $sgpr10
	s_wait_kmcnt 0x0
	s_delay_alu instid0(VALU_DEP_1)
	v_add_nc_u64_e32 v[4:5], s[16:17], v[0:1]
	global_load_b64 v[4:5], v[4:5], off
	s_wait_loadcnt 0x0
	v_mul_f64_e32 v[2:3], v[2:3], v[4:5]
	s_branch .LBB7_7
.LBB7_6:                                ;   in Loop: Header=BB7_7 Depth=1
	s_wait_xcnt 0x0
	s_or_b32 exec_lo, exec_lo, s0
	s_delay_alu instid0(SALU_CYCLE_1) | instskip(NEXT) | instid1(SALU_CYCLE_1)
	s_and_b32 s0, exec_lo, s10
	s_or_b32 s1, s0, s1
	s_delay_alu instid0(SALU_CYCLE_1)
	s_and_not1_b32 exec_lo, exec_lo, s1
	s_cbranch_execz .LBB7_9
.LBB7_7:                                ; =>This Inner Loop Header: Depth=1
	v_add_nc_u64_e32 v[4:5], s[12:13], v[0:1]
	s_or_b32 s10, s10, exec_lo
	global_load_b64 v[4:5], v[4:5], off th:TH_LOAD_NT
	s_wait_loadcnt 0x0
	s_wait_xcnt 0x0
	v_sub_nc_u64_e64 v[4:5], v[4:5], s[2:3]
	s_delay_alu instid0(VALU_DEP_1) | instskip(SKIP_2) | instid1(SALU_CYCLE_1)
	v_cmp_lt_i64_e32 vcc_lo, -1, v[4:5]
	v_cmp_gt_i64_e64 s0, s[6:7], v[4:5]
	s_and_b32 s11, vcc_lo, s0
	s_and_saveexec_b32 s0, s11
	s_cbranch_execz .LBB7_6
; %bb.8:                                ;   in Loop: Header=BB7_7 Depth=1
	v_add_nc_u64_e32 v[6:7], s[14:15], v[0:1]
	v_lshl_add_u64 v[4:5], v[4:5], 3, s[18:19]
	s_add_nc_u64 s[8:9], s[8:9], -1
	v_add_nc_u64_e32 v[0:1], s[4:5], v[0:1]
	s_cmp_eq_u64 s[8:9], 0
	s_cselect_b32 s11, -1, 0
	global_load_b64 v[6:7], v[6:7], off th:TH_LOAD_NT
	s_and_not1_b32 s10, s10, exec_lo
	s_and_b32 s11, s11, exec_lo
	s_delay_alu instid0(SALU_CYCLE_1)
	s_or_b32 s10, s10, s11
	s_wait_loadcnt 0x0
	s_wait_xcnt 0x0
	v_mul_f64_e32 v[6:7], v[2:3], v[6:7]
	global_atomic_add_f64 v[4:5], v[6:7], off scope:SCOPE_DEV
	s_branch .LBB7_6
.LBB7_9:
	s_endpgm
	.section	.rodata,"a",@progbits
	.p2align	6, 0x0
	.amdhsa_kernel _ZN9rocsparseL13ellmvt_kernelILj1024ElddddEEv20rocsparse_operation_T0_S2_S2_NS_24const_host_device_scalarIT4_EEPKS2_PKT1_PKT2_PT3_21rocsparse_index_base_b
		.amdhsa_group_segment_fixed_size 0
		.amdhsa_private_segment_fixed_size 0
		.amdhsa_kernarg_size 80
		.amdhsa_user_sgpr_count 2
		.amdhsa_user_sgpr_dispatch_ptr 0
		.amdhsa_user_sgpr_queue_ptr 0
		.amdhsa_user_sgpr_kernarg_segment_ptr 1
		.amdhsa_user_sgpr_dispatch_id 0
		.amdhsa_user_sgpr_kernarg_preload_length 0
		.amdhsa_user_sgpr_kernarg_preload_offset 0
		.amdhsa_user_sgpr_private_segment_size 0
		.amdhsa_wavefront_size32 1
		.amdhsa_uses_dynamic_stack 0
		.amdhsa_enable_private_segment 0
		.amdhsa_system_sgpr_workgroup_id_x 1
		.amdhsa_system_sgpr_workgroup_id_y 0
		.amdhsa_system_sgpr_workgroup_id_z 0
		.amdhsa_system_sgpr_workgroup_info 0
		.amdhsa_system_vgpr_workitem_id 0
		.amdhsa_next_free_vgpr 8
		.amdhsa_next_free_sgpr 20
		.amdhsa_named_barrier_count 0
		.amdhsa_reserve_vcc 1
		.amdhsa_float_round_mode_32 0
		.amdhsa_float_round_mode_16_64 0
		.amdhsa_float_denorm_mode_32 3
		.amdhsa_float_denorm_mode_16_64 3
		.amdhsa_fp16_overflow 0
		.amdhsa_memory_ordered 1
		.amdhsa_forward_progress 1
		.amdhsa_inst_pref_size 4
		.amdhsa_round_robin_scheduling 0
		.amdhsa_exception_fp_ieee_invalid_op 0
		.amdhsa_exception_fp_denorm_src 0
		.amdhsa_exception_fp_ieee_div_zero 0
		.amdhsa_exception_fp_ieee_overflow 0
		.amdhsa_exception_fp_ieee_underflow 0
		.amdhsa_exception_fp_ieee_inexact 0
		.amdhsa_exception_int_div_zero 0
	.end_amdhsa_kernel
	.section	.text._ZN9rocsparseL13ellmvt_kernelILj1024ElddddEEv20rocsparse_operation_T0_S2_S2_NS_24const_host_device_scalarIT4_EEPKS2_PKT1_PKT2_PT3_21rocsparse_index_base_b,"axG",@progbits,_ZN9rocsparseL13ellmvt_kernelILj1024ElddddEEv20rocsparse_operation_T0_S2_S2_NS_24const_host_device_scalarIT4_EEPKS2_PKT1_PKT2_PT3_21rocsparse_index_base_b,comdat
.Lfunc_end7:
	.size	_ZN9rocsparseL13ellmvt_kernelILj1024ElddddEEv20rocsparse_operation_T0_S2_S2_NS_24const_host_device_scalarIT4_EEPKS2_PKT1_PKT2_PT3_21rocsparse_index_base_b, .Lfunc_end7-_ZN9rocsparseL13ellmvt_kernelILj1024ElddddEEv20rocsparse_operation_T0_S2_S2_NS_24const_host_device_scalarIT4_EEPKS2_PKT1_PKT2_PT3_21rocsparse_index_base_b
                                        ; -- End function
	.set _ZN9rocsparseL13ellmvt_kernelILj1024ElddddEEv20rocsparse_operation_T0_S2_S2_NS_24const_host_device_scalarIT4_EEPKS2_PKT1_PKT2_PT3_21rocsparse_index_base_b.num_vgpr, 8
	.set _ZN9rocsparseL13ellmvt_kernelILj1024ElddddEEv20rocsparse_operation_T0_S2_S2_NS_24const_host_device_scalarIT4_EEPKS2_PKT1_PKT2_PT3_21rocsparse_index_base_b.num_agpr, 0
	.set _ZN9rocsparseL13ellmvt_kernelILj1024ElddddEEv20rocsparse_operation_T0_S2_S2_NS_24const_host_device_scalarIT4_EEPKS2_PKT1_PKT2_PT3_21rocsparse_index_base_b.numbered_sgpr, 20
	.set _ZN9rocsparseL13ellmvt_kernelILj1024ElddddEEv20rocsparse_operation_T0_S2_S2_NS_24const_host_device_scalarIT4_EEPKS2_PKT1_PKT2_PT3_21rocsparse_index_base_b.num_named_barrier, 0
	.set _ZN9rocsparseL13ellmvt_kernelILj1024ElddddEEv20rocsparse_operation_T0_S2_S2_NS_24const_host_device_scalarIT4_EEPKS2_PKT1_PKT2_PT3_21rocsparse_index_base_b.private_seg_size, 0
	.set _ZN9rocsparseL13ellmvt_kernelILj1024ElddddEEv20rocsparse_operation_T0_S2_S2_NS_24const_host_device_scalarIT4_EEPKS2_PKT1_PKT2_PT3_21rocsparse_index_base_b.uses_vcc, 1
	.set _ZN9rocsparseL13ellmvt_kernelILj1024ElddddEEv20rocsparse_operation_T0_S2_S2_NS_24const_host_device_scalarIT4_EEPKS2_PKT1_PKT2_PT3_21rocsparse_index_base_b.uses_flat_scratch, 0
	.set _ZN9rocsparseL13ellmvt_kernelILj1024ElddddEEv20rocsparse_operation_T0_S2_S2_NS_24const_host_device_scalarIT4_EEPKS2_PKT1_PKT2_PT3_21rocsparse_index_base_b.has_dyn_sized_stack, 0
	.set _ZN9rocsparseL13ellmvt_kernelILj1024ElddddEEv20rocsparse_operation_T0_S2_S2_NS_24const_host_device_scalarIT4_EEPKS2_PKT1_PKT2_PT3_21rocsparse_index_base_b.has_recursion, 0
	.set _ZN9rocsparseL13ellmvt_kernelILj1024ElddddEEv20rocsparse_operation_T0_S2_S2_NS_24const_host_device_scalarIT4_EEPKS2_PKT1_PKT2_PT3_21rocsparse_index_base_b.has_indirect_call, 0
	.section	.AMDGPU.csdata,"",@progbits
; Kernel info:
; codeLenInByte = 412
; TotalNumSgprs: 22
; NumVgprs: 8
; ScratchSize: 0
; MemoryBound: 0
; FloatMode: 240
; IeeeMode: 1
; LDSByteSize: 0 bytes/workgroup (compile time only)
; SGPRBlocks: 0
; VGPRBlocks: 0
; NumSGPRsForWavesPerEU: 22
; NumVGPRsForWavesPerEU: 8
; NamedBarCnt: 0
; Occupancy: 16
; WaveLimiterHint : 1
; COMPUTE_PGM_RSRC2:SCRATCH_EN: 0
; COMPUTE_PGM_RSRC2:USER_SGPR: 2
; COMPUTE_PGM_RSRC2:TRAP_HANDLER: 0
; COMPUTE_PGM_RSRC2:TGID_X_EN: 1
; COMPUTE_PGM_RSRC2:TGID_Y_EN: 0
; COMPUTE_PGM_RSRC2:TGID_Z_EN: 0
; COMPUTE_PGM_RSRC2:TIDIG_COMP_CNT: 0
	.section	.text._ZN9rocsparseL13ellmvn_kernelILj512Ei21rocsparse_complex_numIfES2_S2_S2_EEvT0_S3_S3_NS_24const_host_device_scalarIT4_EEPKS3_PKT1_PKT2_S6_PT3_21rocsparse_index_base_b,"axG",@progbits,_ZN9rocsparseL13ellmvn_kernelILj512Ei21rocsparse_complex_numIfES2_S2_S2_EEvT0_S3_S3_NS_24const_host_device_scalarIT4_EEPKS3_PKT1_PKT2_S6_PT3_21rocsparse_index_base_b,comdat
	.globl	_ZN9rocsparseL13ellmvn_kernelILj512Ei21rocsparse_complex_numIfES2_S2_S2_EEvT0_S3_S3_NS_24const_host_device_scalarIT4_EEPKS3_PKT1_PKT2_S6_PT3_21rocsparse_index_base_b ; -- Begin function _ZN9rocsparseL13ellmvn_kernelILj512Ei21rocsparse_complex_numIfES2_S2_S2_EEvT0_S3_S3_NS_24const_host_device_scalarIT4_EEPKS3_PKT1_PKT2_S6_PT3_21rocsparse_index_base_b
	.p2align	8
	.type	_ZN9rocsparseL13ellmvn_kernelILj512Ei21rocsparse_complex_numIfES2_S2_S2_EEvT0_S3_S3_NS_24const_host_device_scalarIT4_EEPKS3_PKT1_PKT2_S6_PT3_21rocsparse_index_base_b,@function
_ZN9rocsparseL13ellmvn_kernelILj512Ei21rocsparse_complex_numIfES2_S2_S2_EEvT0_S3_S3_NS_24const_host_device_scalarIT4_EEPKS3_PKT1_PKT2_S6_PT3_21rocsparse_index_base_b: ; @_ZN9rocsparseL13ellmvn_kernelILj512Ei21rocsparse_complex_numIfES2_S2_S2_EEvT0_S3_S3_NS_24const_host_device_scalarIT4_EEPKS3_PKT1_PKT2_S6_PT3_21rocsparse_index_base_b
; %bb.0:
	s_clause 0x2
	s_load_b64 s[8:9], s[0:1], 0x40
	s_load_b64 s[2:3], s[0:1], 0x10
	;; [unrolled: 1-line block ×3, first 2 shown]
	v_mov_b32_e32 v1, 0
	s_add_nc_u64 s[6:7], s[0:1], 16
	s_add_nc_u64 s[10:11], s[0:1], 48
	s_wait_kmcnt 0x0
	s_bitcmp1_b32 s9, 0
	s_cselect_b32 s3, s7, s3
	s_cselect_b32 s2, s6, s2
	;; [unrolled: 1-line block ×4, first 2 shown]
	s_clause 0x1
	flat_load_b64 v[2:3], v1, s[2:3]
	flat_load_b64 v[4:5], v1, s[4:5]
	s_wait_loadcnt_dscnt 0x101
	s_wait_xcnt 0x1
	v_cmp_neq_f32_e64 s2, 0, v2
	v_cmp_neq_f32_e64 s3, 0, v3
	s_wait_loadcnt_dscnt 0x0
	v_cmp_neq_f32_e64 s4, 1.0, v4
	v_cmp_neq_f32_e32 vcc_lo, 0, v5
	s_or_b32 s2, s2, s3
	s_or_b32 s3, s4, vcc_lo
	s_delay_alu instid0(SALU_CYCLE_1) | instskip(NEXT) | instid1(SALU_CYCLE_1)
	s_or_b32 s2, s2, s3
	s_and_saveexec_b32 s3, s2
	s_cbranch_execz .LBB8_13
; %bb.1:
	s_load_b96 s[4:6], s[0:1], 0x0
	s_bfe_u32 s2, ttmp6, 0x4000c
	s_and_b32 s3, ttmp6, 15
	s_add_co_i32 s2, s2, 1
	s_getreg_b32 s7, hwreg(HW_REG_IB_STS2, 6, 4)
	s_mul_i32 s2, ttmp9, s2
	s_delay_alu instid0(SALU_CYCLE_1) | instskip(SKIP_2) | instid1(SALU_CYCLE_1)
	s_add_co_i32 s3, s3, s2
	s_cmp_eq_u32 s7, 0
	s_cselect_b32 s2, ttmp9, s3
	v_lshl_or_b32 v0, s2, 9, v0
	s_wait_kmcnt 0x0
	s_delay_alu instid0(VALU_DEP_1)
	v_cmp_gt_i32_e64 s2, s4, v0
	s_and_b32 exec_lo, exec_lo, s2
	s_cbranch_execz .LBB8_13
; %bb.2:
	s_load_b64 s[2:3], s[0:1], 0x38
	s_cmp_lt_i32 s6, 1
	s_cbranch_scc1 .LBB8_8
; %bb.3:
	s_clause 0x1
	s_load_b128 s[12:15], s[0:1], 0x18
	s_load_b64 s[10:11], s[0:1], 0x28
	v_dual_mov_b32 v6, 0 :: v_dual_ashrrev_i32 v1, 31, v0
	s_wait_xcnt 0x0
	s_ashr_i32 s1, s4, 31
	s_mov_b32 s0, s4
	s_mov_b32 s4, 0
                                        ; implicit-def: $sgpr7
	v_mov_b32_e32 v7, v6
	s_wait_kmcnt 0x0
	v_lshl_add_u64 v[8:9], v[0:1], 2, s[12:13]
	v_lshl_add_u64 v[10:11], v[0:1], 3, s[14:15]
	s_lshl_b64 s[12:13], s[0:1], 2
	s_lshl_b64 s[14:15], s[0:1], 3
	s_branch .LBB8_5
.LBB8_4:                                ;   in Loop: Header=BB8_5 Depth=1
	s_or_b32 exec_lo, exec_lo, s0
	s_delay_alu instid0(SALU_CYCLE_1) | instskip(NEXT) | instid1(SALU_CYCLE_1)
	s_and_b32 s0, exec_lo, s7
	s_or_b32 s4, s0, s4
	s_delay_alu instid0(SALU_CYCLE_1)
	s_and_not1_b32 exec_lo, exec_lo, s4
	s_cbranch_execz .LBB8_7
.LBB8_5:                                ; =>This Inner Loop Header: Depth=1
	global_load_b32 v1, v[8:9], off th:TH_LOAD_NT
	s_or_b32 s7, s7, exec_lo
	s_wait_loadcnt 0x0
	v_subrev_nc_u32_e32 v1, s8, v1
	s_delay_alu instid0(VALU_DEP_1) | instskip(SKIP_2) | instid1(SALU_CYCLE_1)
	v_cmp_lt_i32_e64 s0, -1, v1
	v_cmp_gt_i32_e64 s1, s5, v1
	s_and_b32 s1, s0, s1
	s_and_saveexec_b32 s0, s1
	s_cbranch_execz .LBB8_4
; %bb.6:                                ;   in Loop: Header=BB8_5 Depth=1
	global_load_b64 v[12:13], v1, s[10:11] scale_offset
	global_load_b64 v[14:15], v[10:11], off th:TH_LOAD_NT
	s_add_co_i32 s6, s6, -1
	v_add_nc_u64_e32 v[8:9], s[12:13], v[8:9]
	s_cmp_eq_u32 s6, 0
	s_wait_xcnt 0x0
	v_add_nc_u64_e32 v[10:11], s[14:15], v[10:11]
	s_cselect_b32 s1, -1, 0
	s_and_not1_b32 s7, s7, exec_lo
	s_and_b32 s1, s1, exec_lo
	s_delay_alu instid0(SALU_CYCLE_1) | instskip(SKIP_2) | instid1(VALU_DEP_1)
	s_or_b32 s7, s7, s1
	s_wait_loadcnt 0x0
	v_pk_fma_f32 v[6:7], v[14:15], v[12:13], v[6:7] op_sel_hi:[1,0,1]
	v_pk_fma_f32 v[6:7], v[14:15], v[12:13], v[6:7] op_sel:[1,1,0] op_sel_hi:[0,1,1] neg_lo:[1,0,0]
	s_branch .LBB8_4
.LBB8_7:
	s_or_b32 exec_lo, exec_lo, s4
	s_branch .LBB8_9
.LBB8_8:
	v_mov_b32_e32 v7, 0
	s_delay_alu instid0(VALU_DEP_1)
	v_mov_b32_e32 v6, v7
.LBB8_9:
	s_wait_xcnt 0x0
	v_cmp_eq_f32_e64 s0, 0, v4
	s_xor_b32 s1, vcc_lo, -1
	s_delay_alu instid0(SALU_CYCLE_1) | instskip(NEXT) | instid1(SALU_CYCLE_1)
	s_and_b32 s0, s0, s1
	s_and_saveexec_b32 s1, s0
	s_delay_alu instid0(SALU_CYCLE_1)
	s_xor_b32 s0, exec_lo, s1
	s_cbranch_execz .LBB8_11
; %bb.10:
	v_xor_b32_e32 v4, 0x80000000, v3
	v_mov_b32_e32 v5, v2
	s_delay_alu instid0(VALU_DEP_1) | instskip(NEXT) | instid1(VALU_DEP_1)
	v_pk_mul_f32 v[4:5], v[6:7], v[4:5] op_sel:[1,0]
	v_pk_fma_f32 v[2:3], v[2:3], v[6:7], v[4:5] op_sel_hi:[1,0,1]
                                        ; implicit-def: $vgpr4_vgpr5
                                        ; implicit-def: $vgpr6_vgpr7
	s_wait_kmcnt 0x0
	global_store_b64 v0, v[2:3], s[2:3] scale_offset th:TH_STORE_NT
                                        ; implicit-def: $vgpr0
                                        ; implicit-def: $vgpr2_vgpr3
.LBB8_11:
	s_wait_xcnt 0x0
	s_and_not1_saveexec_b32 s0, s0
	s_cbranch_execz .LBB8_13
; %bb.12:
	s_wait_kmcnt 0x0
	global_load_b64 v[8:9], v0, s[2:3] scale_offset th:TH_LOAD_NT
	v_xor_b32_e32 v10, 0x80000000, v3
	v_mov_b32_e32 v11, v2
	s_delay_alu instid0(VALU_DEP_1) | instskip(NEXT) | instid1(VALU_DEP_1)
	v_pk_mul_f32 v[10:11], v[6:7], v[10:11] op_sel:[1,0]
	v_pk_fma_f32 v[2:3], v[2:3], v[6:7], v[10:11] op_sel_hi:[1,0,1]
	v_xor_b32_e32 v6, 0x80000000, v5
	v_mov_b32_e32 v7, v4
	s_wait_loadcnt 0x0
	s_delay_alu instid0(VALU_DEP_3) | instskip(NEXT) | instid1(VALU_DEP_1)
	v_pk_fma_f32 v[2:3], v[4:5], v[8:9], v[2:3] op_sel_hi:[1,0,1]
	v_pk_fma_f32 v[2:3], v[6:7], v[8:9], v[2:3] op_sel:[0,1,0]
	global_store_b64 v0, v[2:3], s[2:3] scale_offset th:TH_STORE_NT
.LBB8_13:
	s_endpgm
	.section	.rodata,"a",@progbits
	.p2align	6, 0x0
	.amdhsa_kernel _ZN9rocsparseL13ellmvn_kernelILj512Ei21rocsparse_complex_numIfES2_S2_S2_EEvT0_S3_S3_NS_24const_host_device_scalarIT4_EEPKS3_PKT1_PKT2_S6_PT3_21rocsparse_index_base_b
		.amdhsa_group_segment_fixed_size 0
		.amdhsa_private_segment_fixed_size 0
		.amdhsa_kernarg_size 72
		.amdhsa_user_sgpr_count 2
		.amdhsa_user_sgpr_dispatch_ptr 0
		.amdhsa_user_sgpr_queue_ptr 0
		.amdhsa_user_sgpr_kernarg_segment_ptr 1
		.amdhsa_user_sgpr_dispatch_id 0
		.amdhsa_user_sgpr_kernarg_preload_length 0
		.amdhsa_user_sgpr_kernarg_preload_offset 0
		.amdhsa_user_sgpr_private_segment_size 0
		.amdhsa_wavefront_size32 1
		.amdhsa_uses_dynamic_stack 0
		.amdhsa_enable_private_segment 0
		.amdhsa_system_sgpr_workgroup_id_x 1
		.amdhsa_system_sgpr_workgroup_id_y 0
		.amdhsa_system_sgpr_workgroup_id_z 0
		.amdhsa_system_sgpr_workgroup_info 0
		.amdhsa_system_vgpr_workitem_id 0
		.amdhsa_next_free_vgpr 16
		.amdhsa_next_free_sgpr 16
		.amdhsa_named_barrier_count 0
		.amdhsa_reserve_vcc 1
		.amdhsa_float_round_mode_32 0
		.amdhsa_float_round_mode_16_64 0
		.amdhsa_float_denorm_mode_32 3
		.amdhsa_float_denorm_mode_16_64 3
		.amdhsa_fp16_overflow 0
		.amdhsa_memory_ordered 1
		.amdhsa_forward_progress 1
		.amdhsa_inst_pref_size 6
		.amdhsa_round_robin_scheduling 0
		.amdhsa_exception_fp_ieee_invalid_op 0
		.amdhsa_exception_fp_denorm_src 0
		.amdhsa_exception_fp_ieee_div_zero 0
		.amdhsa_exception_fp_ieee_overflow 0
		.amdhsa_exception_fp_ieee_underflow 0
		.amdhsa_exception_fp_ieee_inexact 0
		.amdhsa_exception_int_div_zero 0
	.end_amdhsa_kernel
	.section	.text._ZN9rocsparseL13ellmvn_kernelILj512Ei21rocsparse_complex_numIfES2_S2_S2_EEvT0_S3_S3_NS_24const_host_device_scalarIT4_EEPKS3_PKT1_PKT2_S6_PT3_21rocsparse_index_base_b,"axG",@progbits,_ZN9rocsparseL13ellmvn_kernelILj512Ei21rocsparse_complex_numIfES2_S2_S2_EEvT0_S3_S3_NS_24const_host_device_scalarIT4_EEPKS3_PKT1_PKT2_S6_PT3_21rocsparse_index_base_b,comdat
.Lfunc_end8:
	.size	_ZN9rocsparseL13ellmvn_kernelILj512Ei21rocsparse_complex_numIfES2_S2_S2_EEvT0_S3_S3_NS_24const_host_device_scalarIT4_EEPKS3_PKT1_PKT2_S6_PT3_21rocsparse_index_base_b, .Lfunc_end8-_ZN9rocsparseL13ellmvn_kernelILj512Ei21rocsparse_complex_numIfES2_S2_S2_EEvT0_S3_S3_NS_24const_host_device_scalarIT4_EEPKS3_PKT1_PKT2_S6_PT3_21rocsparse_index_base_b
                                        ; -- End function
	.set _ZN9rocsparseL13ellmvn_kernelILj512Ei21rocsparse_complex_numIfES2_S2_S2_EEvT0_S3_S3_NS_24const_host_device_scalarIT4_EEPKS3_PKT1_PKT2_S6_PT3_21rocsparse_index_base_b.num_vgpr, 16
	.set _ZN9rocsparseL13ellmvn_kernelILj512Ei21rocsparse_complex_numIfES2_S2_S2_EEvT0_S3_S3_NS_24const_host_device_scalarIT4_EEPKS3_PKT1_PKT2_S6_PT3_21rocsparse_index_base_b.num_agpr, 0
	.set _ZN9rocsparseL13ellmvn_kernelILj512Ei21rocsparse_complex_numIfES2_S2_S2_EEvT0_S3_S3_NS_24const_host_device_scalarIT4_EEPKS3_PKT1_PKT2_S6_PT3_21rocsparse_index_base_b.numbered_sgpr, 16
	.set _ZN9rocsparseL13ellmvn_kernelILj512Ei21rocsparse_complex_numIfES2_S2_S2_EEvT0_S3_S3_NS_24const_host_device_scalarIT4_EEPKS3_PKT1_PKT2_S6_PT3_21rocsparse_index_base_b.num_named_barrier, 0
	.set _ZN9rocsparseL13ellmvn_kernelILj512Ei21rocsparse_complex_numIfES2_S2_S2_EEvT0_S3_S3_NS_24const_host_device_scalarIT4_EEPKS3_PKT1_PKT2_S6_PT3_21rocsparse_index_base_b.private_seg_size, 0
	.set _ZN9rocsparseL13ellmvn_kernelILj512Ei21rocsparse_complex_numIfES2_S2_S2_EEvT0_S3_S3_NS_24const_host_device_scalarIT4_EEPKS3_PKT1_PKT2_S6_PT3_21rocsparse_index_base_b.uses_vcc, 1
	.set _ZN9rocsparseL13ellmvn_kernelILj512Ei21rocsparse_complex_numIfES2_S2_S2_EEvT0_S3_S3_NS_24const_host_device_scalarIT4_EEPKS3_PKT1_PKT2_S6_PT3_21rocsparse_index_base_b.uses_flat_scratch, 1
	.set _ZN9rocsparseL13ellmvn_kernelILj512Ei21rocsparse_complex_numIfES2_S2_S2_EEvT0_S3_S3_NS_24const_host_device_scalarIT4_EEPKS3_PKT1_PKT2_S6_PT3_21rocsparse_index_base_b.has_dyn_sized_stack, 0
	.set _ZN9rocsparseL13ellmvn_kernelILj512Ei21rocsparse_complex_numIfES2_S2_S2_EEvT0_S3_S3_NS_24const_host_device_scalarIT4_EEPKS3_PKT1_PKT2_S6_PT3_21rocsparse_index_base_b.has_recursion, 0
	.set _ZN9rocsparseL13ellmvn_kernelILj512Ei21rocsparse_complex_numIfES2_S2_S2_EEvT0_S3_S3_NS_24const_host_device_scalarIT4_EEPKS3_PKT1_PKT2_S6_PT3_21rocsparse_index_base_b.has_indirect_call, 0
	.section	.AMDGPU.csdata,"",@progbits
; Kernel info:
; codeLenInByte = 724
; TotalNumSgprs: 18
; NumVgprs: 16
; ScratchSize: 0
; MemoryBound: 0
; FloatMode: 240
; IeeeMode: 1
; LDSByteSize: 0 bytes/workgroup (compile time only)
; SGPRBlocks: 0
; VGPRBlocks: 0
; NumSGPRsForWavesPerEU: 18
; NumVGPRsForWavesPerEU: 16
; NamedBarCnt: 0
; Occupancy: 16
; WaveLimiterHint : 1
; COMPUTE_PGM_RSRC2:SCRATCH_EN: 0
; COMPUTE_PGM_RSRC2:USER_SGPR: 2
; COMPUTE_PGM_RSRC2:TRAP_HANDLER: 0
; COMPUTE_PGM_RSRC2:TGID_X_EN: 1
; COMPUTE_PGM_RSRC2:TGID_Y_EN: 0
; COMPUTE_PGM_RSRC2:TGID_Z_EN: 0
; COMPUTE_PGM_RSRC2:TIDIG_COMP_CNT: 0
	.section	.text._ZN9rocsparseL13ellmvt_kernelILj1024Ei21rocsparse_complex_numIfES2_S2_S2_EEv20rocsparse_operation_T0_S4_S4_NS_24const_host_device_scalarIT4_EEPKS4_PKT1_PKT2_PT3_21rocsparse_index_base_b,"axG",@progbits,_ZN9rocsparseL13ellmvt_kernelILj1024Ei21rocsparse_complex_numIfES2_S2_S2_EEv20rocsparse_operation_T0_S4_S4_NS_24const_host_device_scalarIT4_EEPKS4_PKT1_PKT2_PT3_21rocsparse_index_base_b,comdat
	.globl	_ZN9rocsparseL13ellmvt_kernelILj1024Ei21rocsparse_complex_numIfES2_S2_S2_EEv20rocsparse_operation_T0_S4_S4_NS_24const_host_device_scalarIT4_EEPKS4_PKT1_PKT2_PT3_21rocsparse_index_base_b ; -- Begin function _ZN9rocsparseL13ellmvt_kernelILj1024Ei21rocsparse_complex_numIfES2_S2_S2_EEv20rocsparse_operation_T0_S4_S4_NS_24const_host_device_scalarIT4_EEPKS4_PKT1_PKT2_PT3_21rocsparse_index_base_b
	.p2align	8
	.type	_ZN9rocsparseL13ellmvt_kernelILj1024Ei21rocsparse_complex_numIfES2_S2_S2_EEv20rocsparse_operation_T0_S4_S4_NS_24const_host_device_scalarIT4_EEPKS4_PKT1_PKT2_PT3_21rocsparse_index_base_b,@function
_ZN9rocsparseL13ellmvt_kernelILj1024Ei21rocsparse_complex_numIfES2_S2_S2_EEv20rocsparse_operation_T0_S4_S4_NS_24const_host_device_scalarIT4_EEPKS4_PKT1_PKT2_PT3_21rocsparse_index_base_b: ; @_ZN9rocsparseL13ellmvt_kernelILj1024Ei21rocsparse_complex_numIfES2_S2_S2_EEv20rocsparse_operation_T0_S4_S4_NS_24const_host_device_scalarIT4_EEPKS4_PKT1_PKT2_PT3_21rocsparse_index_base_b
; %bb.0:
	s_clause 0x1
	s_load_b64 s[16:17], s[0:1], 0x38
	s_load_b64 s[2:3], s[0:1], 0x10
	v_mov_b32_e32 v1, 0
	s_add_nc_u64 s[4:5], s[0:1], 16
	s_wait_kmcnt 0x0
	s_bitcmp1_b32 s17, 0
	s_cselect_b32 s3, s5, s3
	s_cselect_b32 s2, s4, s2
	flat_load_b64 v[4:5], v1, s[2:3]
	s_wait_loadcnt_dscnt 0x0
	v_cmp_neq_f32_e32 vcc_lo, 0, v4
	v_cmp_neq_f32_e64 s2, 0, v5
	s_or_b32 s2, vcc_lo, s2
	s_delay_alu instid0(SALU_CYCLE_1)
	s_and_saveexec_b32 s3, s2
	s_cbranch_execz .LBB9_7
; %bb.1:
	s_load_b128 s[12:15], s[0:1], 0x0
	s_bfe_u32 s2, ttmp6, 0x4000c
	s_and_b32 s3, ttmp6, 15
	s_add_co_i32 s2, s2, 1
	s_getreg_b32 s4, hwreg(HW_REG_IB_STS2, 6, 4)
	s_mul_i32 s2, ttmp9, s2
	s_delay_alu instid0(SALU_CYCLE_1) | instskip(SKIP_2) | instid1(SALU_CYCLE_1)
	s_add_co_i32 s3, s3, s2
	s_cmp_eq_u32 s4, 0
	s_cselect_b32 s2, ttmp9, s3
	v_lshl_or_b32 v0, s2, 10, v0
	s_wait_kmcnt 0x0
	s_delay_alu instid0(VALU_DEP_1)
	v_cmp_gt_i32_e32 vcc_lo, s13, v0
	s_and_b32 exec_lo, exec_lo, vcc_lo
	s_cbranch_execz .LBB9_7
; %bb.2:
	s_cmp_lt_i32 s15, 1
	s_cbranch_scc1 .LBB9_7
; %bb.3:
	s_load_b256 s[4:11], s[0:1], 0x18
	s_wait_kmcnt 0x0
	global_load_b64 v[8:9], v0, s[8:9] scale_offset
	v_ashrrev_i32_e32 v1, 31, v0
	s_wait_xcnt 0x0
	s_ashr_i32 s9, s13, 31
	s_mov_b32 s8, s13
	s_cmp_eq_u32 s12, 0x71
	s_cselect_b32 s1, -1, 0
	s_lshl_b64 s[2:3], s[8:9], 2
	s_wait_loadcnt 0x0
	v_mul_f32_e64 v6, v9, -v5
	v_lshl_add_u64 v[2:3], v[0:1], 3, s[6:7]
	v_mul_f32_e32 v7, v4, v9
	v_lshl_add_u64 v[0:1], v[0:1], 2, s[4:5]
	s_lshl_b64 s[4:5], s[8:9], 3
	v_fmac_f32_e32 v6, v4, v8
	v_add_nc_u64_e32 v[2:3], 4, v[2:3]
	v_dual_fmac_f32 v7, v5, v8 :: v_dual_mov_b32 v5, 0
	s_mov_b32 s6, 0
                                        ; implicit-def: $sgpr7
	s_branch .LBB9_5
.LBB9_4:                                ;   in Loop: Header=BB9_5 Depth=1
	s_wait_xcnt 0x0
	s_or_b32 exec_lo, exec_lo, s0
	s_delay_alu instid0(SALU_CYCLE_1) | instskip(NEXT) | instid1(SALU_CYCLE_1)
	s_and_b32 s0, exec_lo, s7
	s_or_b32 s6, s0, s6
	s_delay_alu instid0(SALU_CYCLE_1)
	s_and_not1_b32 exec_lo, exec_lo, s6
	s_cbranch_execz .LBB9_7
.LBB9_5:                                ; =>This Inner Loop Header: Depth=1
	global_load_b32 v4, v[0:1], off th:TH_LOAD_NT
	s_or_b32 s7, s7, exec_lo
	s_wait_loadcnt 0x0
	v_subrev_nc_u32_e32 v4, s16, v4
	s_delay_alu instid0(VALU_DEP_1)
	v_cmp_lt_i32_e32 vcc_lo, -1, v4
	v_cmp_gt_i32_e64 s0, s14, v4
	s_and_b32 s8, vcc_lo, s0
	s_wait_xcnt 0x0
	s_and_saveexec_b32 s0, s8
	s_cbranch_execz .LBB9_4
; %bb.6:                                ;   in Loop: Header=BB9_5 Depth=1
	global_load_b64 v[8:9], v[2:3], off offset:-4 th:TH_LOAD_NT
	v_lshl_add_u64 v[10:11], v[4:5], 3, s[10:11]
	s_add_co_i32 s15, s15, -1
	v_add_nc_u64_e32 v[0:1], s[2:3], v[0:1]
	s_cmp_eq_u32 s15, 0
	s_wait_xcnt 0x0
	v_add_nc_u64_e32 v[2:3], s[4:5], v[2:3]
	s_cselect_b32 s8, -1, 0
	s_and_not1_b32 s7, s7, exec_lo
	s_and_b32 s8, s8, exec_lo
	s_delay_alu instid0(SALU_CYCLE_1) | instskip(SKIP_2) | instid1(VALU_DEP_1)
	s_or_b32 s7, s7, s8
	s_wait_loadcnt 0x0
	v_cndmask_b32_e64 v9, v9, -v9, s1
	v_mul_f32_e64 v12, v9, -v7
	s_delay_alu instid0(VALU_DEP_1) | instskip(NEXT) | instid1(VALU_DEP_1)
	v_dual_fmac_f32 v12, v6, v8 :: v_dual_mul_f32 v9, v6, v9
	v_fmac_f32_e32 v9, v7, v8
	global_atomic_add_f32 v[10:11], v12, off scope:SCOPE_DEV
	s_wait_xcnt 0x0
	global_atomic_add_f32 v[10:11], v9, off offset:4 scope:SCOPE_DEV
	s_branch .LBB9_4
.LBB9_7:
	s_endpgm
	.section	.rodata,"a",@progbits
	.p2align	6, 0x0
	.amdhsa_kernel _ZN9rocsparseL13ellmvt_kernelILj1024Ei21rocsparse_complex_numIfES2_S2_S2_EEv20rocsparse_operation_T0_S4_S4_NS_24const_host_device_scalarIT4_EEPKS4_PKT1_PKT2_PT3_21rocsparse_index_base_b
		.amdhsa_group_segment_fixed_size 0
		.amdhsa_private_segment_fixed_size 0
		.amdhsa_kernarg_size 64
		.amdhsa_user_sgpr_count 2
		.amdhsa_user_sgpr_dispatch_ptr 0
		.amdhsa_user_sgpr_queue_ptr 0
		.amdhsa_user_sgpr_kernarg_segment_ptr 1
		.amdhsa_user_sgpr_dispatch_id 0
		.amdhsa_user_sgpr_kernarg_preload_length 0
		.amdhsa_user_sgpr_kernarg_preload_offset 0
		.amdhsa_user_sgpr_private_segment_size 0
		.amdhsa_wavefront_size32 1
		.amdhsa_uses_dynamic_stack 0
		.amdhsa_enable_private_segment 0
		.amdhsa_system_sgpr_workgroup_id_x 1
		.amdhsa_system_sgpr_workgroup_id_y 0
		.amdhsa_system_sgpr_workgroup_id_z 0
		.amdhsa_system_sgpr_workgroup_info 0
		.amdhsa_system_vgpr_workitem_id 0
		.amdhsa_next_free_vgpr 13
		.amdhsa_next_free_sgpr 18
		.amdhsa_named_barrier_count 0
		.amdhsa_reserve_vcc 1
		.amdhsa_float_round_mode_32 0
		.amdhsa_float_round_mode_16_64 0
		.amdhsa_float_denorm_mode_32 3
		.amdhsa_float_denorm_mode_16_64 3
		.amdhsa_fp16_overflow 0
		.amdhsa_memory_ordered 1
		.amdhsa_forward_progress 1
		.amdhsa_inst_pref_size 4
		.amdhsa_round_robin_scheduling 0
		.amdhsa_exception_fp_ieee_invalid_op 0
		.amdhsa_exception_fp_denorm_src 0
		.amdhsa_exception_fp_ieee_div_zero 0
		.amdhsa_exception_fp_ieee_overflow 0
		.amdhsa_exception_fp_ieee_underflow 0
		.amdhsa_exception_fp_ieee_inexact 0
		.amdhsa_exception_int_div_zero 0
	.end_amdhsa_kernel
	.section	.text._ZN9rocsparseL13ellmvt_kernelILj1024Ei21rocsparse_complex_numIfES2_S2_S2_EEv20rocsparse_operation_T0_S4_S4_NS_24const_host_device_scalarIT4_EEPKS4_PKT1_PKT2_PT3_21rocsparse_index_base_b,"axG",@progbits,_ZN9rocsparseL13ellmvt_kernelILj1024Ei21rocsparse_complex_numIfES2_S2_S2_EEv20rocsparse_operation_T0_S4_S4_NS_24const_host_device_scalarIT4_EEPKS4_PKT1_PKT2_PT3_21rocsparse_index_base_b,comdat
.Lfunc_end9:
	.size	_ZN9rocsparseL13ellmvt_kernelILj1024Ei21rocsparse_complex_numIfES2_S2_S2_EEv20rocsparse_operation_T0_S4_S4_NS_24const_host_device_scalarIT4_EEPKS4_PKT1_PKT2_PT3_21rocsparse_index_base_b, .Lfunc_end9-_ZN9rocsparseL13ellmvt_kernelILj1024Ei21rocsparse_complex_numIfES2_S2_S2_EEv20rocsparse_operation_T0_S4_S4_NS_24const_host_device_scalarIT4_EEPKS4_PKT1_PKT2_PT3_21rocsparse_index_base_b
                                        ; -- End function
	.set _ZN9rocsparseL13ellmvt_kernelILj1024Ei21rocsparse_complex_numIfES2_S2_S2_EEv20rocsparse_operation_T0_S4_S4_NS_24const_host_device_scalarIT4_EEPKS4_PKT1_PKT2_PT3_21rocsparse_index_base_b.num_vgpr, 13
	.set _ZN9rocsparseL13ellmvt_kernelILj1024Ei21rocsparse_complex_numIfES2_S2_S2_EEv20rocsparse_operation_T0_S4_S4_NS_24const_host_device_scalarIT4_EEPKS4_PKT1_PKT2_PT3_21rocsparse_index_base_b.num_agpr, 0
	.set _ZN9rocsparseL13ellmvt_kernelILj1024Ei21rocsparse_complex_numIfES2_S2_S2_EEv20rocsparse_operation_T0_S4_S4_NS_24const_host_device_scalarIT4_EEPKS4_PKT1_PKT2_PT3_21rocsparse_index_base_b.numbered_sgpr, 18
	.set _ZN9rocsparseL13ellmvt_kernelILj1024Ei21rocsparse_complex_numIfES2_S2_S2_EEv20rocsparse_operation_T0_S4_S4_NS_24const_host_device_scalarIT4_EEPKS4_PKT1_PKT2_PT3_21rocsparse_index_base_b.num_named_barrier, 0
	.set _ZN9rocsparseL13ellmvt_kernelILj1024Ei21rocsparse_complex_numIfES2_S2_S2_EEv20rocsparse_operation_T0_S4_S4_NS_24const_host_device_scalarIT4_EEPKS4_PKT1_PKT2_PT3_21rocsparse_index_base_b.private_seg_size, 0
	.set _ZN9rocsparseL13ellmvt_kernelILj1024Ei21rocsparse_complex_numIfES2_S2_S2_EEv20rocsparse_operation_T0_S4_S4_NS_24const_host_device_scalarIT4_EEPKS4_PKT1_PKT2_PT3_21rocsparse_index_base_b.uses_vcc, 1
	.set _ZN9rocsparseL13ellmvt_kernelILj1024Ei21rocsparse_complex_numIfES2_S2_S2_EEv20rocsparse_operation_T0_S4_S4_NS_24const_host_device_scalarIT4_EEPKS4_PKT1_PKT2_PT3_21rocsparse_index_base_b.uses_flat_scratch, 0
	.set _ZN9rocsparseL13ellmvt_kernelILj1024Ei21rocsparse_complex_numIfES2_S2_S2_EEv20rocsparse_operation_T0_S4_S4_NS_24const_host_device_scalarIT4_EEPKS4_PKT1_PKT2_PT3_21rocsparse_index_base_b.has_dyn_sized_stack, 0
	.set _ZN9rocsparseL13ellmvt_kernelILj1024Ei21rocsparse_complex_numIfES2_S2_S2_EEv20rocsparse_operation_T0_S4_S4_NS_24const_host_device_scalarIT4_EEPKS4_PKT1_PKT2_PT3_21rocsparse_index_base_b.has_recursion, 0
	.set _ZN9rocsparseL13ellmvt_kernelILj1024Ei21rocsparse_complex_numIfES2_S2_S2_EEv20rocsparse_operation_T0_S4_S4_NS_24const_host_device_scalarIT4_EEPKS4_PKT1_PKT2_PT3_21rocsparse_index_base_b.has_indirect_call, 0
	.section	.AMDGPU.csdata,"",@progbits
; Kernel info:
; codeLenInByte = 512
; TotalNumSgprs: 20
; NumVgprs: 13
; ScratchSize: 0
; MemoryBound: 0
; FloatMode: 240
; IeeeMode: 1
; LDSByteSize: 0 bytes/workgroup (compile time only)
; SGPRBlocks: 0
; VGPRBlocks: 0
; NumSGPRsForWavesPerEU: 20
; NumVGPRsForWavesPerEU: 13
; NamedBarCnt: 0
; Occupancy: 16
; WaveLimiterHint : 1
; COMPUTE_PGM_RSRC2:SCRATCH_EN: 0
; COMPUTE_PGM_RSRC2:USER_SGPR: 2
; COMPUTE_PGM_RSRC2:TRAP_HANDLER: 0
; COMPUTE_PGM_RSRC2:TGID_X_EN: 1
; COMPUTE_PGM_RSRC2:TGID_Y_EN: 0
; COMPUTE_PGM_RSRC2:TGID_Z_EN: 0
; COMPUTE_PGM_RSRC2:TIDIG_COMP_CNT: 0
	.section	.text._ZN9rocsparseL13ellmvn_kernelILj512El21rocsparse_complex_numIfES2_S2_S2_EEvT0_S3_S3_NS_24const_host_device_scalarIT4_EEPKS3_PKT1_PKT2_S6_PT3_21rocsparse_index_base_b,"axG",@progbits,_ZN9rocsparseL13ellmvn_kernelILj512El21rocsparse_complex_numIfES2_S2_S2_EEvT0_S3_S3_NS_24const_host_device_scalarIT4_EEPKS3_PKT1_PKT2_S6_PT3_21rocsparse_index_base_b,comdat
	.globl	_ZN9rocsparseL13ellmvn_kernelILj512El21rocsparse_complex_numIfES2_S2_S2_EEvT0_S3_S3_NS_24const_host_device_scalarIT4_EEPKS3_PKT1_PKT2_S6_PT3_21rocsparse_index_base_b ; -- Begin function _ZN9rocsparseL13ellmvn_kernelILj512El21rocsparse_complex_numIfES2_S2_S2_EEvT0_S3_S3_NS_24const_host_device_scalarIT4_EEPKS3_PKT1_PKT2_S6_PT3_21rocsparse_index_base_b
	.p2align	8
	.type	_ZN9rocsparseL13ellmvn_kernelILj512El21rocsparse_complex_numIfES2_S2_S2_EEvT0_S3_S3_NS_24const_host_device_scalarIT4_EEPKS3_PKT1_PKT2_S6_PT3_21rocsparse_index_base_b,@function
_ZN9rocsparseL13ellmvn_kernelILj512El21rocsparse_complex_numIfES2_S2_S2_EEvT0_S3_S3_NS_24const_host_device_scalarIT4_EEPKS3_PKT1_PKT2_S6_PT3_21rocsparse_index_base_b: ; @_ZN9rocsparseL13ellmvn_kernelILj512El21rocsparse_complex_numIfES2_S2_S2_EEvT0_S3_S3_NS_24const_host_device_scalarIT4_EEPKS3_PKT1_PKT2_S6_PT3_21rocsparse_index_base_b
; %bb.0:
	s_clause 0x2
	s_load_b64 s[16:17], s[0:1], 0x48
	s_load_b256 s[8:15], s[0:1], 0x0
	s_load_b64 s[2:3], s[0:1], 0x38
	v_mov_b32_e32 v1, 0
	s_add_nc_u64 s[4:5], s[0:1], 24
	s_add_nc_u64 s[6:7], s[0:1], 56
	s_wait_kmcnt 0x0
	s_bitcmp1_b32 s17, 0
	s_cselect_b32 s5, s5, s15
	s_cselect_b32 s4, s4, s14
	s_cselect_b32 s3, s7, s3
	s_cselect_b32 s2, s6, s2
	s_clause 0x1
	flat_load_b64 v[2:3], v1, s[4:5]
	flat_load_b64 v[4:5], v1, s[2:3]
	s_wait_loadcnt_dscnt 0x101
	v_cmp_neq_f32_e32 vcc_lo, 0, v2
	s_wait_xcnt 0x0
	v_cmp_neq_f32_e64 s3, 0, v3
	s_wait_loadcnt_dscnt 0x0
	v_cmp_neq_f32_e64 s4, 1.0, v4
	v_cmp_neq_f32_e64 s2, 0, v5
	s_or_b32 s3, vcc_lo, s3
	s_or_b32 s4, s4, s2
	s_delay_alu instid0(SALU_CYCLE_1) | instskip(NEXT) | instid1(SALU_CYCLE_1)
	s_or_b32 s3, s3, s4
	s_and_saveexec_b32 s4, s3
	s_cbranch_execz .LBB10_13
; %bb.1:
	s_bfe_u32 s3, ttmp6, 0x4000c
	s_and_b32 s4, ttmp6, 15
	s_add_co_i32 s3, s3, 1
	s_getreg_b32 s5, hwreg(HW_REG_IB_STS2, 6, 4)
	s_mul_i32 s3, ttmp9, s3
	s_delay_alu instid0(SALU_CYCLE_1) | instskip(SKIP_2) | instid1(SALU_CYCLE_1)
	s_add_co_i32 s4, s4, s3
	s_cmp_eq_u32 s5, 0
	s_cselect_b32 s3, ttmp9, s4
	v_lshl_or_b32 v0, s3, 9, v0
	s_delay_alu instid0(VALU_DEP_1)
	v_cmp_gt_i64_e32 vcc_lo, s[8:9], v[0:1]
	s_and_b32 exec_lo, exec_lo, vcc_lo
	s_cbranch_execz .LBB10_13
; %bb.2:
	v_cmp_lt_i64_e64 s3, s[12:13], 1
	s_and_b32 vcc_lo, exec_lo, s3
	s_cbranch_vccnz .LBB10_8
; %bb.3:
	s_clause 0x1
	s_load_b128 s[4:7], s[0:1], 0x20
	s_load_b64 s[14:15], s[0:1], 0x30
	v_mov_b32_e32 v6, 0
	v_lshlrev_b64_e32 v[8:9], 3, v[0:1]
	s_mov_b32 s17, 0
	s_lshl_b64 s[8:9], s[8:9], 3
	s_mov_b32 s18, s17
	v_mov_b32_e32 v7, v6
                                        ; implicit-def: $sgpr19
	s_branch .LBB10_5
.LBB10_4:                               ;   in Loop: Header=BB10_5 Depth=1
	s_or_b32 exec_lo, exec_lo, s3
	s_delay_alu instid0(SALU_CYCLE_1) | instskip(NEXT) | instid1(SALU_CYCLE_1)
	s_and_b32 s3, exec_lo, s19
	s_or_b32 s18, s3, s18
	s_delay_alu instid0(SALU_CYCLE_1)
	s_and_not1_b32 exec_lo, exec_lo, s18
	s_cbranch_execz .LBB10_7
.LBB10_5:                               ; =>This Inner Loop Header: Depth=1
	s_wait_kmcnt 0x0
	v_add_nc_u64_e32 v[10:11], s[4:5], v[8:9]
	s_or_b32 s19, s19, exec_lo
	global_load_b64 v[10:11], v[10:11], off th:TH_LOAD_NT
	s_wait_loadcnt 0x0
	v_sub_nc_u64_e64 v[10:11], v[10:11], s[16:17]
	s_delay_alu instid0(VALU_DEP_1) | instskip(SKIP_2) | instid1(SALU_CYCLE_1)
	v_cmp_lt_i64_e32 vcc_lo, -1, v[10:11]
	v_cmp_gt_i64_e64 s3, s[10:11], v[10:11]
	s_and_b32 s20, vcc_lo, s3
	s_and_saveexec_b32 s3, s20
	s_cbranch_execz .LBB10_4
; %bb.6:                                ;   in Loop: Header=BB10_5 Depth=1
	v_add_nc_u64_e32 v[12:13], s[6:7], v[8:9]
	v_lshl_add_u64 v[10:11], v[10:11], 3, s[14:15]
	s_add_nc_u64 s[12:13], s[12:13], -1
	v_add_nc_u64_e32 v[8:9], s[8:9], v[8:9]
	s_cmp_eq_u64 s[12:13], 0
	global_load_b64 v[14:15], v[10:11], off
	global_load_b64 v[16:17], v[12:13], off th:TH_LOAD_NT
	s_cselect_b32 s20, -1, 0
	s_and_not1_b32 s19, s19, exec_lo
	s_and_b32 s20, s20, exec_lo
	s_delay_alu instid0(SALU_CYCLE_1) | instskip(SKIP_2) | instid1(VALU_DEP_1)
	s_or_b32 s19, s19, s20
	s_wait_loadcnt 0x0
	v_pk_fma_f32 v[6:7], v[16:17], v[14:15], v[6:7] op_sel_hi:[1,0,1]
	v_pk_fma_f32 v[6:7], v[16:17], v[14:15], v[6:7] op_sel:[1,1,0] op_sel_hi:[0,1,1] neg_lo:[1,0,0]
	s_branch .LBB10_4
.LBB10_7:
	s_or_b32 exec_lo, exec_lo, s18
	s_branch .LBB10_9
.LBB10_8:
	v_mov_b32_e32 v7, 0
	s_delay_alu instid0(VALU_DEP_1)
	v_mov_b32_e32 v6, v7
.LBB10_9:
	s_load_b64 s[0:1], s[0:1], 0x40
	v_cmp_eq_f32_e32 vcc_lo, 0, v4
	s_xor_b32 s2, s2, -1
	s_delay_alu instid0(SALU_CYCLE_1) | instskip(NEXT) | instid1(SALU_CYCLE_1)
	s_and_b32 s2, vcc_lo, s2
	s_and_saveexec_b32 s3, s2
	s_delay_alu instid0(SALU_CYCLE_1)
	s_xor_b32 s2, exec_lo, s3
	s_cbranch_execz .LBB10_11
; %bb.10:
	v_xor_b32_e32 v4, 0x80000000, v3
	v_mov_b32_e32 v5, v2
	s_wait_kmcnt 0x0
	v_lshl_add_u64 v[0:1], v[0:1], 3, s[0:1]
	s_delay_alu instid0(VALU_DEP_2) | instskip(NEXT) | instid1(VALU_DEP_1)
	v_pk_mul_f32 v[4:5], v[6:7], v[4:5] op_sel:[1,0]
	v_pk_fma_f32 v[2:3], v[2:3], v[6:7], v[4:5] op_sel_hi:[1,0,1]
                                        ; implicit-def: $vgpr4_vgpr5
                                        ; implicit-def: $vgpr6_vgpr7
	global_store_b64 v[0:1], v[2:3], off th:TH_STORE_NT
                                        ; implicit-def: $vgpr0_vgpr1
                                        ; implicit-def: $vgpr2_vgpr3
.LBB10_11:
	s_wait_xcnt 0x0
	s_and_not1_saveexec_b32 s2, s2
	s_cbranch_execz .LBB10_13
; %bb.12:
	s_wait_kmcnt 0x0
	v_lshl_add_u64 v[0:1], v[0:1], 3, s[0:1]
	v_xor_b32_e32 v10, 0x80000000, v3
	v_mov_b32_e32 v11, v2
	global_load_b64 v[8:9], v[0:1], off th:TH_LOAD_NT
	v_pk_mul_f32 v[10:11], v[6:7], v[10:11] op_sel:[1,0]
	s_delay_alu instid0(VALU_DEP_1) | instskip(SKIP_3) | instid1(VALU_DEP_3)
	v_pk_fma_f32 v[2:3], v[2:3], v[6:7], v[10:11] op_sel_hi:[1,0,1]
	v_xor_b32_e32 v6, 0x80000000, v5
	v_mov_b32_e32 v7, v4
	s_wait_loadcnt 0x0
	v_pk_fma_f32 v[2:3], v[4:5], v[8:9], v[2:3] op_sel_hi:[1,0,1]
	s_delay_alu instid0(VALU_DEP_1)
	v_pk_fma_f32 v[2:3], v[6:7], v[8:9], v[2:3] op_sel:[0,1,0]
	global_store_b64 v[0:1], v[2:3], off th:TH_STORE_NT
.LBB10_13:
	s_endpgm
	.section	.rodata,"a",@progbits
	.p2align	6, 0x0
	.amdhsa_kernel _ZN9rocsparseL13ellmvn_kernelILj512El21rocsparse_complex_numIfES2_S2_S2_EEvT0_S3_S3_NS_24const_host_device_scalarIT4_EEPKS3_PKT1_PKT2_S6_PT3_21rocsparse_index_base_b
		.amdhsa_group_segment_fixed_size 0
		.amdhsa_private_segment_fixed_size 0
		.amdhsa_kernarg_size 80
		.amdhsa_user_sgpr_count 2
		.amdhsa_user_sgpr_dispatch_ptr 0
		.amdhsa_user_sgpr_queue_ptr 0
		.amdhsa_user_sgpr_kernarg_segment_ptr 1
		.amdhsa_user_sgpr_dispatch_id 0
		.amdhsa_user_sgpr_kernarg_preload_length 0
		.amdhsa_user_sgpr_kernarg_preload_offset 0
		.amdhsa_user_sgpr_private_segment_size 0
		.amdhsa_wavefront_size32 1
		.amdhsa_uses_dynamic_stack 0
		.amdhsa_enable_private_segment 0
		.amdhsa_system_sgpr_workgroup_id_x 1
		.amdhsa_system_sgpr_workgroup_id_y 0
		.amdhsa_system_sgpr_workgroup_id_z 0
		.amdhsa_system_sgpr_workgroup_info 0
		.amdhsa_system_vgpr_workitem_id 0
		.amdhsa_next_free_vgpr 18
		.amdhsa_next_free_sgpr 21
		.amdhsa_named_barrier_count 0
		.amdhsa_reserve_vcc 1
		.amdhsa_float_round_mode_32 0
		.amdhsa_float_round_mode_16_64 0
		.amdhsa_float_denorm_mode_32 3
		.amdhsa_float_denorm_mode_16_64 3
		.amdhsa_fp16_overflow 0
		.amdhsa_memory_ordered 1
		.amdhsa_forward_progress 1
		.amdhsa_inst_pref_size 6
		.amdhsa_round_robin_scheduling 0
		.amdhsa_exception_fp_ieee_invalid_op 0
		.amdhsa_exception_fp_denorm_src 0
		.amdhsa_exception_fp_ieee_div_zero 0
		.amdhsa_exception_fp_ieee_overflow 0
		.amdhsa_exception_fp_ieee_underflow 0
		.amdhsa_exception_fp_ieee_inexact 0
		.amdhsa_exception_int_div_zero 0
	.end_amdhsa_kernel
	.section	.text._ZN9rocsparseL13ellmvn_kernelILj512El21rocsparse_complex_numIfES2_S2_S2_EEvT0_S3_S3_NS_24const_host_device_scalarIT4_EEPKS3_PKT1_PKT2_S6_PT3_21rocsparse_index_base_b,"axG",@progbits,_ZN9rocsparseL13ellmvn_kernelILj512El21rocsparse_complex_numIfES2_S2_S2_EEvT0_S3_S3_NS_24const_host_device_scalarIT4_EEPKS3_PKT1_PKT2_S6_PT3_21rocsparse_index_base_b,comdat
.Lfunc_end10:
	.size	_ZN9rocsparseL13ellmvn_kernelILj512El21rocsparse_complex_numIfES2_S2_S2_EEvT0_S3_S3_NS_24const_host_device_scalarIT4_EEPKS3_PKT1_PKT2_S6_PT3_21rocsparse_index_base_b, .Lfunc_end10-_ZN9rocsparseL13ellmvn_kernelILj512El21rocsparse_complex_numIfES2_S2_S2_EEvT0_S3_S3_NS_24const_host_device_scalarIT4_EEPKS3_PKT1_PKT2_S6_PT3_21rocsparse_index_base_b
                                        ; -- End function
	.set _ZN9rocsparseL13ellmvn_kernelILj512El21rocsparse_complex_numIfES2_S2_S2_EEvT0_S3_S3_NS_24const_host_device_scalarIT4_EEPKS3_PKT1_PKT2_S6_PT3_21rocsparse_index_base_b.num_vgpr, 18
	.set _ZN9rocsparseL13ellmvn_kernelILj512El21rocsparse_complex_numIfES2_S2_S2_EEvT0_S3_S3_NS_24const_host_device_scalarIT4_EEPKS3_PKT1_PKT2_S6_PT3_21rocsparse_index_base_b.num_agpr, 0
	.set _ZN9rocsparseL13ellmvn_kernelILj512El21rocsparse_complex_numIfES2_S2_S2_EEvT0_S3_S3_NS_24const_host_device_scalarIT4_EEPKS3_PKT1_PKT2_S6_PT3_21rocsparse_index_base_b.numbered_sgpr, 21
	.set _ZN9rocsparseL13ellmvn_kernelILj512El21rocsparse_complex_numIfES2_S2_S2_EEvT0_S3_S3_NS_24const_host_device_scalarIT4_EEPKS3_PKT1_PKT2_S6_PT3_21rocsparse_index_base_b.num_named_barrier, 0
	.set _ZN9rocsparseL13ellmvn_kernelILj512El21rocsparse_complex_numIfES2_S2_S2_EEvT0_S3_S3_NS_24const_host_device_scalarIT4_EEPKS3_PKT1_PKT2_S6_PT3_21rocsparse_index_base_b.private_seg_size, 0
	.set _ZN9rocsparseL13ellmvn_kernelILj512El21rocsparse_complex_numIfES2_S2_S2_EEvT0_S3_S3_NS_24const_host_device_scalarIT4_EEPKS3_PKT1_PKT2_S6_PT3_21rocsparse_index_base_b.uses_vcc, 1
	.set _ZN9rocsparseL13ellmvn_kernelILj512El21rocsparse_complex_numIfES2_S2_S2_EEvT0_S3_S3_NS_24const_host_device_scalarIT4_EEPKS3_PKT1_PKT2_S6_PT3_21rocsparse_index_base_b.uses_flat_scratch, 1
	.set _ZN9rocsparseL13ellmvn_kernelILj512El21rocsparse_complex_numIfES2_S2_S2_EEvT0_S3_S3_NS_24const_host_device_scalarIT4_EEPKS3_PKT1_PKT2_S6_PT3_21rocsparse_index_base_b.has_dyn_sized_stack, 0
	.set _ZN9rocsparseL13ellmvn_kernelILj512El21rocsparse_complex_numIfES2_S2_S2_EEvT0_S3_S3_NS_24const_host_device_scalarIT4_EEPKS3_PKT1_PKT2_S6_PT3_21rocsparse_index_base_b.has_recursion, 0
	.set _ZN9rocsparseL13ellmvn_kernelILj512El21rocsparse_complex_numIfES2_S2_S2_EEvT0_S3_S3_NS_24const_host_device_scalarIT4_EEPKS3_PKT1_PKT2_S6_PT3_21rocsparse_index_base_b.has_indirect_call, 0
	.section	.AMDGPU.csdata,"",@progbits
; Kernel info:
; codeLenInByte = 704
; TotalNumSgprs: 23
; NumVgprs: 18
; ScratchSize: 0
; MemoryBound: 0
; FloatMode: 240
; IeeeMode: 1
; LDSByteSize: 0 bytes/workgroup (compile time only)
; SGPRBlocks: 0
; VGPRBlocks: 1
; NumSGPRsForWavesPerEU: 23
; NumVGPRsForWavesPerEU: 18
; NamedBarCnt: 0
; Occupancy: 16
; WaveLimiterHint : 1
; COMPUTE_PGM_RSRC2:SCRATCH_EN: 0
; COMPUTE_PGM_RSRC2:USER_SGPR: 2
; COMPUTE_PGM_RSRC2:TRAP_HANDLER: 0
; COMPUTE_PGM_RSRC2:TGID_X_EN: 1
; COMPUTE_PGM_RSRC2:TGID_Y_EN: 0
; COMPUTE_PGM_RSRC2:TGID_Z_EN: 0
; COMPUTE_PGM_RSRC2:TIDIG_COMP_CNT: 0
	.section	.text._ZN9rocsparseL13ellmvt_kernelILj1024El21rocsparse_complex_numIfES2_S2_S2_EEv20rocsparse_operation_T0_S4_S4_NS_24const_host_device_scalarIT4_EEPKS4_PKT1_PKT2_PT3_21rocsparse_index_base_b,"axG",@progbits,_ZN9rocsparseL13ellmvt_kernelILj1024El21rocsparse_complex_numIfES2_S2_S2_EEv20rocsparse_operation_T0_S4_S4_NS_24const_host_device_scalarIT4_EEPKS4_PKT1_PKT2_PT3_21rocsparse_index_base_b,comdat
	.globl	_ZN9rocsparseL13ellmvt_kernelILj1024El21rocsparse_complex_numIfES2_S2_S2_EEv20rocsparse_operation_T0_S4_S4_NS_24const_host_device_scalarIT4_EEPKS4_PKT1_PKT2_PT3_21rocsparse_index_base_b ; -- Begin function _ZN9rocsparseL13ellmvt_kernelILj1024El21rocsparse_complex_numIfES2_S2_S2_EEv20rocsparse_operation_T0_S4_S4_NS_24const_host_device_scalarIT4_EEPKS4_PKT1_PKT2_PT3_21rocsparse_index_base_b
	.p2align	8
	.type	_ZN9rocsparseL13ellmvt_kernelILj1024El21rocsparse_complex_numIfES2_S2_S2_EEv20rocsparse_operation_T0_S4_S4_NS_24const_host_device_scalarIT4_EEPKS4_PKT1_PKT2_PT3_21rocsparse_index_base_b,@function
_ZN9rocsparseL13ellmvt_kernelILj1024El21rocsparse_complex_numIfES2_S2_S2_EEv20rocsparse_operation_T0_S4_S4_NS_24const_host_device_scalarIT4_EEPKS4_PKT1_PKT2_PT3_21rocsparse_index_base_b: ; @_ZN9rocsparseL13ellmvt_kernelILj1024El21rocsparse_complex_numIfES2_S2_S2_EEv20rocsparse_operation_T0_S4_S4_NS_24const_host_device_scalarIT4_EEPKS4_PKT1_PKT2_PT3_21rocsparse_index_base_b
; %bb.0:
	s_clause 0x1
	s_load_b64 s[20:21], s[0:1], 0x48
	s_load_b256 s[4:11], s[0:1], 0x8
	v_mov_b32_e32 v1, 0
	s_add_nc_u64 s[2:3], s[0:1], 32
	s_wait_kmcnt 0x0
	s_bitcmp1_b32 s21, 0
	s_cselect_b32 s3, s3, s11
	s_cselect_b32 s2, s2, s10
	flat_load_b64 v[2:3], v1, s[2:3]
	s_wait_loadcnt_dscnt 0x0
	v_cmp_neq_f32_e32 vcc_lo, 0, v2
	v_cmp_neq_f32_e64 s2, 0, v3
	s_or_b32 s2, vcc_lo, s2
	s_delay_alu instid0(SALU_CYCLE_1)
	s_and_saveexec_b32 s3, s2
	s_cbranch_execz .LBB11_7
; %bb.1:
	s_bfe_u32 s2, ttmp6, 0x4000c
	s_and_b32 s3, ttmp6, 15
	s_add_co_i32 s2, s2, 1
	s_getreg_b32 s10, hwreg(HW_REG_IB_STS2, 6, 4)
	s_mul_i32 s2, ttmp9, s2
	s_delay_alu instid0(SALU_CYCLE_1) | instskip(SKIP_2) | instid1(SALU_CYCLE_1)
	s_add_co_i32 s3, s3, s2
	s_cmp_eq_u32 s10, 0
	s_cselect_b32 s2, ttmp9, s3
	v_lshl_or_b32 v0, s2, 10, v0
	s_delay_alu instid0(VALU_DEP_1)
	v_cmp_gt_i64_e32 vcc_lo, s[4:5], v[0:1]
	s_and_b32 exec_lo, exec_lo, vcc_lo
	s_cbranch_execz .LBB11_7
; %bb.2:
	v_cmp_lt_i64_e64 s2, s[8:9], 1
	s_and_b32 vcc_lo, exec_lo, s2
	s_cbranch_vccnz .LBB11_7
; %bb.3:
	s_load_b256 s[12:19], s[0:1], 0x28
	v_lshlrev_b64_e32 v[0:1], 3, v[0:1]
	s_wait_xcnt 0x0
	s_load_b32 s0, s[0:1], 0x0
	s_mov_b32 s21, 0
	s_wait_kmcnt 0x0
	s_delay_alu instid0(VALU_DEP_1)
	v_add_nc_u64_e32 v[4:5], s[16:17], v[0:1]
	s_cmp_eq_u32 s0, 0x71
	s_cselect_b32 s1, -1, 0
	s_lshl_b64 s[2:3], s[4:5], 3
	s_mov_b32 s4, s21
	global_load_b64 v[6:7], v[4:5], off
                                        ; implicit-def: $sgpr5
	s_wait_loadcnt 0x0
	v_mul_f32_e64 v4, v7, -v3
	s_delay_alu instid0(VALU_DEP_1) | instskip(NEXT) | instid1(VALU_DEP_1)
	v_dual_mul_f32 v5, v2, v7 :: v_dual_fmac_f32 v4, v2, v6
	v_fmac_f32_e32 v5, v3, v6
	s_branch .LBB11_5
.LBB11_4:                               ;   in Loop: Header=BB11_5 Depth=1
	s_wait_xcnt 0x0
	s_or_b32 exec_lo, exec_lo, s0
	s_delay_alu instid0(SALU_CYCLE_1) | instskip(NEXT) | instid1(SALU_CYCLE_1)
	s_and_b32 s0, exec_lo, s5
	s_or_b32 s4, s0, s4
	s_delay_alu instid0(SALU_CYCLE_1)
	s_and_not1_b32 exec_lo, exec_lo, s4
	s_cbranch_execz .LBB11_7
.LBB11_5:                               ; =>This Inner Loop Header: Depth=1
	v_add_nc_u64_e32 v[2:3], s[12:13], v[0:1]
	s_or_b32 s5, s5, exec_lo
	global_load_b64 v[2:3], v[2:3], off th:TH_LOAD_NT
	s_wait_loadcnt 0x0
	s_wait_xcnt 0x0
	v_sub_nc_u64_e64 v[2:3], v[2:3], s[20:21]
	s_delay_alu instid0(VALU_DEP_1) | instskip(SKIP_2) | instid1(SALU_CYCLE_1)
	v_cmp_lt_i64_e32 vcc_lo, -1, v[2:3]
	v_cmp_gt_i64_e64 s0, s[6:7], v[2:3]
	s_and_b32 s10, vcc_lo, s0
	s_and_saveexec_b32 s0, s10
	s_cbranch_execz .LBB11_4
; %bb.6:                                ;   in Loop: Header=BB11_5 Depth=1
	v_add_nc_u64_e32 v[6:7], s[14:15], v[0:1]
	v_lshl_add_u64 v[2:3], v[2:3], 3, s[18:19]
	s_add_nc_u64 s[8:9], s[8:9], -1
	v_add_nc_u64_e32 v[0:1], s[2:3], v[0:1]
	s_cmp_eq_u64 s[8:9], 0
	s_cselect_b32 s10, -1, 0
	global_load_b64 v[6:7], v[6:7], off th:TH_LOAD_NT
	s_and_not1_b32 s5, s5, exec_lo
	s_and_b32 s10, s10, exec_lo
	s_delay_alu instid0(SALU_CYCLE_1) | instskip(SKIP_3) | instid1(VALU_DEP_1)
	s_or_b32 s5, s5, s10
	s_wait_loadcnt 0x0
	s_wait_xcnt 0x0
	v_cndmask_b32_e64 v7, v7, -v7, s1
	v_mul_f32_e64 v8, v7, -v5
	s_delay_alu instid0(VALU_DEP_1) | instskip(NEXT) | instid1(VALU_DEP_1)
	v_dual_fmac_f32 v8, v4, v6 :: v_dual_mul_f32 v7, v4, v7
	v_fmac_f32_e32 v7, v5, v6
	global_atomic_add_f32 v[2:3], v8, off scope:SCOPE_DEV
	s_wait_xcnt 0x0
	global_atomic_add_f32 v[2:3], v7, off offset:4 scope:SCOPE_DEV
	s_branch .LBB11_4
.LBB11_7:
	s_endpgm
	.section	.rodata,"a",@progbits
	.p2align	6, 0x0
	.amdhsa_kernel _ZN9rocsparseL13ellmvt_kernelILj1024El21rocsparse_complex_numIfES2_S2_S2_EEv20rocsparse_operation_T0_S4_S4_NS_24const_host_device_scalarIT4_EEPKS4_PKT1_PKT2_PT3_21rocsparse_index_base_b
		.amdhsa_group_segment_fixed_size 0
		.amdhsa_private_segment_fixed_size 0
		.amdhsa_kernarg_size 80
		.amdhsa_user_sgpr_count 2
		.amdhsa_user_sgpr_dispatch_ptr 0
		.amdhsa_user_sgpr_queue_ptr 0
		.amdhsa_user_sgpr_kernarg_segment_ptr 1
		.amdhsa_user_sgpr_dispatch_id 0
		.amdhsa_user_sgpr_kernarg_preload_length 0
		.amdhsa_user_sgpr_kernarg_preload_offset 0
		.amdhsa_user_sgpr_private_segment_size 0
		.amdhsa_wavefront_size32 1
		.amdhsa_uses_dynamic_stack 0
		.amdhsa_enable_private_segment 0
		.amdhsa_system_sgpr_workgroup_id_x 1
		.amdhsa_system_sgpr_workgroup_id_y 0
		.amdhsa_system_sgpr_workgroup_id_z 0
		.amdhsa_system_sgpr_workgroup_info 0
		.amdhsa_system_vgpr_workitem_id 0
		.amdhsa_next_free_vgpr 9
		.amdhsa_next_free_sgpr 22
		.amdhsa_named_barrier_count 0
		.amdhsa_reserve_vcc 1
		.amdhsa_float_round_mode_32 0
		.amdhsa_float_round_mode_16_64 0
		.amdhsa_float_denorm_mode_32 3
		.amdhsa_float_denorm_mode_16_64 3
		.amdhsa_fp16_overflow 0
		.amdhsa_memory_ordered 1
		.amdhsa_forward_progress 1
		.amdhsa_inst_pref_size 4
		.amdhsa_round_robin_scheduling 0
		.amdhsa_exception_fp_ieee_invalid_op 0
		.amdhsa_exception_fp_denorm_src 0
		.amdhsa_exception_fp_ieee_div_zero 0
		.amdhsa_exception_fp_ieee_overflow 0
		.amdhsa_exception_fp_ieee_underflow 0
		.amdhsa_exception_fp_ieee_inexact 0
		.amdhsa_exception_int_div_zero 0
	.end_amdhsa_kernel
	.section	.text._ZN9rocsparseL13ellmvt_kernelILj1024El21rocsparse_complex_numIfES2_S2_S2_EEv20rocsparse_operation_T0_S4_S4_NS_24const_host_device_scalarIT4_EEPKS4_PKT1_PKT2_PT3_21rocsparse_index_base_b,"axG",@progbits,_ZN9rocsparseL13ellmvt_kernelILj1024El21rocsparse_complex_numIfES2_S2_S2_EEv20rocsparse_operation_T0_S4_S4_NS_24const_host_device_scalarIT4_EEPKS4_PKT1_PKT2_PT3_21rocsparse_index_base_b,comdat
.Lfunc_end11:
	.size	_ZN9rocsparseL13ellmvt_kernelILj1024El21rocsparse_complex_numIfES2_S2_S2_EEv20rocsparse_operation_T0_S4_S4_NS_24const_host_device_scalarIT4_EEPKS4_PKT1_PKT2_PT3_21rocsparse_index_base_b, .Lfunc_end11-_ZN9rocsparseL13ellmvt_kernelILj1024El21rocsparse_complex_numIfES2_S2_S2_EEv20rocsparse_operation_T0_S4_S4_NS_24const_host_device_scalarIT4_EEPKS4_PKT1_PKT2_PT3_21rocsparse_index_base_b
                                        ; -- End function
	.set _ZN9rocsparseL13ellmvt_kernelILj1024El21rocsparse_complex_numIfES2_S2_S2_EEv20rocsparse_operation_T0_S4_S4_NS_24const_host_device_scalarIT4_EEPKS4_PKT1_PKT2_PT3_21rocsparse_index_base_b.num_vgpr, 9
	.set _ZN9rocsparseL13ellmvt_kernelILj1024El21rocsparse_complex_numIfES2_S2_S2_EEv20rocsparse_operation_T0_S4_S4_NS_24const_host_device_scalarIT4_EEPKS4_PKT1_PKT2_PT3_21rocsparse_index_base_b.num_agpr, 0
	.set _ZN9rocsparseL13ellmvt_kernelILj1024El21rocsparse_complex_numIfES2_S2_S2_EEv20rocsparse_operation_T0_S4_S4_NS_24const_host_device_scalarIT4_EEPKS4_PKT1_PKT2_PT3_21rocsparse_index_base_b.numbered_sgpr, 22
	.set _ZN9rocsparseL13ellmvt_kernelILj1024El21rocsparse_complex_numIfES2_S2_S2_EEv20rocsparse_operation_T0_S4_S4_NS_24const_host_device_scalarIT4_EEPKS4_PKT1_PKT2_PT3_21rocsparse_index_base_b.num_named_barrier, 0
	.set _ZN9rocsparseL13ellmvt_kernelILj1024El21rocsparse_complex_numIfES2_S2_S2_EEv20rocsparse_operation_T0_S4_S4_NS_24const_host_device_scalarIT4_EEPKS4_PKT1_PKT2_PT3_21rocsparse_index_base_b.private_seg_size, 0
	.set _ZN9rocsparseL13ellmvt_kernelILj1024El21rocsparse_complex_numIfES2_S2_S2_EEv20rocsparse_operation_T0_S4_S4_NS_24const_host_device_scalarIT4_EEPKS4_PKT1_PKT2_PT3_21rocsparse_index_base_b.uses_vcc, 1
	.set _ZN9rocsparseL13ellmvt_kernelILj1024El21rocsparse_complex_numIfES2_S2_S2_EEv20rocsparse_operation_T0_S4_S4_NS_24const_host_device_scalarIT4_EEPKS4_PKT1_PKT2_PT3_21rocsparse_index_base_b.uses_flat_scratch, 0
	.set _ZN9rocsparseL13ellmvt_kernelILj1024El21rocsparse_complex_numIfES2_S2_S2_EEv20rocsparse_operation_T0_S4_S4_NS_24const_host_device_scalarIT4_EEPKS4_PKT1_PKT2_PT3_21rocsparse_index_base_b.has_dyn_sized_stack, 0
	.set _ZN9rocsparseL13ellmvt_kernelILj1024El21rocsparse_complex_numIfES2_S2_S2_EEv20rocsparse_operation_T0_S4_S4_NS_24const_host_device_scalarIT4_EEPKS4_PKT1_PKT2_PT3_21rocsparse_index_base_b.has_recursion, 0
	.set _ZN9rocsparseL13ellmvt_kernelILj1024El21rocsparse_complex_numIfES2_S2_S2_EEv20rocsparse_operation_T0_S4_S4_NS_24const_host_device_scalarIT4_EEPKS4_PKT1_PKT2_PT3_21rocsparse_index_base_b.has_indirect_call, 0
	.section	.AMDGPU.csdata,"",@progbits
; Kernel info:
; codeLenInByte = 500
; TotalNumSgprs: 24
; NumVgprs: 9
; ScratchSize: 0
; MemoryBound: 0
; FloatMode: 240
; IeeeMode: 1
; LDSByteSize: 0 bytes/workgroup (compile time only)
; SGPRBlocks: 0
; VGPRBlocks: 0
; NumSGPRsForWavesPerEU: 24
; NumVGPRsForWavesPerEU: 9
; NamedBarCnt: 0
; Occupancy: 16
; WaveLimiterHint : 1
; COMPUTE_PGM_RSRC2:SCRATCH_EN: 0
; COMPUTE_PGM_RSRC2:USER_SGPR: 2
; COMPUTE_PGM_RSRC2:TRAP_HANDLER: 0
; COMPUTE_PGM_RSRC2:TGID_X_EN: 1
; COMPUTE_PGM_RSRC2:TGID_Y_EN: 0
; COMPUTE_PGM_RSRC2:TGID_Z_EN: 0
; COMPUTE_PGM_RSRC2:TIDIG_COMP_CNT: 0
	.section	.text._ZN9rocsparseL13ellmvn_kernelILj512Ei21rocsparse_complex_numIdES2_S2_S2_EEvT0_S3_S3_NS_24const_host_device_scalarIT4_EEPKS3_PKT1_PKT2_S6_PT3_21rocsparse_index_base_b,"axG",@progbits,_ZN9rocsparseL13ellmvn_kernelILj512Ei21rocsparse_complex_numIdES2_S2_S2_EEvT0_S3_S3_NS_24const_host_device_scalarIT4_EEPKS3_PKT1_PKT2_S6_PT3_21rocsparse_index_base_b,comdat
	.globl	_ZN9rocsparseL13ellmvn_kernelILj512Ei21rocsparse_complex_numIdES2_S2_S2_EEvT0_S3_S3_NS_24const_host_device_scalarIT4_EEPKS3_PKT1_PKT2_S6_PT3_21rocsparse_index_base_b ; -- Begin function _ZN9rocsparseL13ellmvn_kernelILj512Ei21rocsparse_complex_numIdES2_S2_S2_EEvT0_S3_S3_NS_24const_host_device_scalarIT4_EEPKS3_PKT1_PKT2_S6_PT3_21rocsparse_index_base_b
	.p2align	8
	.type	_ZN9rocsparseL13ellmvn_kernelILj512Ei21rocsparse_complex_numIdES2_S2_S2_EEvT0_S3_S3_NS_24const_host_device_scalarIT4_EEPKS3_PKT1_PKT2_S6_PT3_21rocsparse_index_base_b,@function
_ZN9rocsparseL13ellmvn_kernelILj512Ei21rocsparse_complex_numIdES2_S2_S2_EEvT0_S3_S3_NS_24const_host_device_scalarIT4_EEPKS3_PKT1_PKT2_S6_PT3_21rocsparse_index_base_b: ; @_ZN9rocsparseL13ellmvn_kernelILj512Ei21rocsparse_complex_numIdES2_S2_S2_EEvT0_S3_S3_NS_24const_host_device_scalarIT4_EEPKS3_PKT1_PKT2_S6_PT3_21rocsparse_index_base_b
; %bb.0:
	s_clause 0x1
	s_load_b64 s[8:9], s[0:1], 0x50
	s_load_b64 s[2:3], s[0:1], 0x10
	v_mov_b32_e32 v1, 0
	s_add_nc_u64 s[4:5], s[0:1], 16
	s_load_b64 s[6:7], s[0:1], 0x38
	s_wait_kmcnt 0x0
	s_bitcmp1_b32 s9, 0
	s_cselect_b32 s3, s5, s3
	s_cselect_b32 s2, s4, s2
	flat_load_b128 v[2:5], v1, s[2:3]
	s_wait_xcnt 0x0
	s_add_nc_u64 s[2:3], s[0:1], 56
	s_delay_alu instid0(SALU_CYCLE_1)
	s_cselect_b32 s3, s3, s7
	s_cselect_b32 s2, s2, s6
	flat_load_b128 v[6:9], v1, s[2:3]
	s_wait_loadcnt_dscnt 0x101
	v_cmp_eq_f64_e32 vcc_lo, 0, v[2:3]
	s_wait_xcnt 0x0
	v_cmp_eq_f64_e64 s2, 0, v[4:5]
	s_and_b32 s4, vcc_lo, s2
	s_mov_b32 s2, -1
	s_and_saveexec_b32 s3, s4
	s_cbranch_execz .LBB12_2
; %bb.1:
	s_wait_loadcnt_dscnt 0x0
	v_cmp_neq_f64_e32 vcc_lo, 1.0, v[6:7]
	v_cmp_neq_f64_e64 s2, 0, v[8:9]
	s_or_b32 s2, vcc_lo, s2
	s_delay_alu instid0(SALU_CYCLE_1)
	s_or_not1_b32 s2, s2, exec_lo
.LBB12_2:
	s_or_b32 exec_lo, exec_lo, s3
	s_and_saveexec_b32 s3, s2
	s_cbranch_execz .LBB12_15
; %bb.3:
	s_load_b96 s[4:6], s[0:1], 0x0
	s_bfe_u32 s2, ttmp6, 0x4000c
	s_and_b32 s3, ttmp6, 15
	s_add_co_i32 s2, s2, 1
	s_getreg_b32 s7, hwreg(HW_REG_IB_STS2, 6, 4)
	s_mul_i32 s2, ttmp9, s2
	s_delay_alu instid0(SALU_CYCLE_1) | instskip(SKIP_2) | instid1(SALU_CYCLE_1)
	s_add_co_i32 s3, s3, s2
	s_cmp_eq_u32 s7, 0
	s_cselect_b32 s2, ttmp9, s3
	v_lshl_or_b32 v0, s2, 9, v0
	s_wait_kmcnt 0x0
	s_delay_alu instid0(VALU_DEP_1)
	v_cmp_gt_i32_e32 vcc_lo, s4, v0
	s_and_b32 exec_lo, exec_lo, vcc_lo
	s_cbranch_execz .LBB12_15
; %bb.4:
	s_load_b64 s[2:3], s[0:1], 0x48
	s_cmp_lt_i32 s6, 1
	s_cbranch_scc1 .LBB12_10
; %bb.5:
	s_clause 0x1
	s_load_b128 s[12:15], s[0:1], 0x20
	s_load_b64 s[10:11], s[0:1], 0x30
	v_ashrrev_i32_e32 v1, 31, v0
	v_mov_b64_e32 v[10:11], 0
	s_wait_xcnt 0x0
	s_ashr_i32 s1, s4, 31
	s_mov_b32 s0, s4
                                        ; implicit-def: $sgpr4
	s_wait_kmcnt 0x0
	v_lshl_add_u64 v[12:13], v[0:1], 4, s[14:15]
	v_lshl_add_u64 v[16:17], v[0:1], 2, s[12:13]
	s_lshl_b64 s[12:13], s[0:1], 2
	s_lshl_b64 s[14:15], s[0:1], 4
	s_mov_b32 s1, 0
	v_add_nc_u64_e32 v[14:15], 8, v[12:13]
	v_mov_b64_e32 v[12:13], 0
	s_branch .LBB12_7
.LBB12_6:                               ;   in Loop: Header=BB12_7 Depth=1
	s_or_b32 exec_lo, exec_lo, s0
	s_delay_alu instid0(SALU_CYCLE_1) | instskip(NEXT) | instid1(SALU_CYCLE_1)
	s_and_b32 s0, exec_lo, s4
	s_or_b32 s1, s0, s1
	s_delay_alu instid0(SALU_CYCLE_1)
	s_and_not1_b32 exec_lo, exec_lo, s1
	s_cbranch_execz .LBB12_9
.LBB12_7:                               ; =>This Inner Loop Header: Depth=1
	global_load_b32 v1, v[16:17], off th:TH_LOAD_NT
	s_or_b32 s4, s4, exec_lo
	s_wait_loadcnt 0x0
	v_subrev_nc_u32_e32 v1, s8, v1
	s_delay_alu instid0(VALU_DEP_1) | instskip(SKIP_2) | instid1(SALU_CYCLE_1)
	v_cmp_lt_i32_e32 vcc_lo, -1, v1
	v_cmp_gt_i32_e64 s0, s5, v1
	s_and_b32 s7, vcc_lo, s0
	s_and_saveexec_b32 s0, s7
	s_cbranch_execz .LBB12_6
; %bb.8:                                ;   in Loop: Header=BB12_7 Depth=1
	global_load_b128 v[18:21], v[14:15], off offset:-8 th:TH_LOAD_NT
	global_load_b128 v[22:25], v1, s[10:11] scale_offset
	s_add_co_i32 s6, s6, -1
	v_add_nc_u64_e32 v[16:17], s[12:13], v[16:17]
	s_cmp_eq_u32 s6, 0
	s_wait_xcnt 0x1
	v_add_nc_u64_e32 v[14:15], s[14:15], v[14:15]
	s_cselect_b32 s7, -1, 0
	s_and_not1_b32 s4, s4, exec_lo
	s_and_b32 s7, s7, exec_lo
	s_delay_alu instid0(SALU_CYCLE_1) | instskip(SKIP_3) | instid1(VALU_DEP_2)
	s_or_b32 s4, s4, s7
	s_wait_loadcnt 0x0
	v_fmac_f64_e32 v[12:13], v[18:19], v[22:23]
	v_fmac_f64_e32 v[10:11], v[20:21], v[22:23]
	v_fma_f64 v[12:13], -v[20:21], v[24:25], v[12:13]
	s_delay_alu instid0(VALU_DEP_2)
	v_fmac_f64_e32 v[10:11], v[18:19], v[24:25]
	s_branch .LBB12_6
.LBB12_9:
	s_or_b32 exec_lo, exec_lo, s1
	s_branch .LBB12_11
.LBB12_10:
	v_mov_b64_e32 v[10:11], 0
	v_mov_b64_e32 v[12:13], 0
.LBB12_11:
	s_wait_loadcnt_dscnt 0x0
	v_cmp_eq_f64_e32 vcc_lo, 0, v[6:7]
	s_wait_xcnt 0x0
	v_cmp_eq_f64_e64 s0, 0, v[8:9]
	s_and_b32 s0, vcc_lo, s0
	s_delay_alu instid0(SALU_CYCLE_1) | instskip(NEXT) | instid1(SALU_CYCLE_1)
	s_and_saveexec_b32 s1, s0
	s_xor_b32 s0, exec_lo, s1
	s_cbranch_execz .LBB12_13
; %bb.12:
	v_mul_f64_e64 v[6:7], v[10:11], -v[4:5]
	v_mul_f64_e32 v[8:9], v[2:3], v[10:11]
                                        ; implicit-def: $vgpr10_vgpr11
	s_delay_alu instid0(VALU_DEP_2) | instskip(NEXT) | instid1(VALU_DEP_2)
	v_fmac_f64_e32 v[6:7], v[2:3], v[12:13]
	v_fmac_f64_e32 v[8:9], v[4:5], v[12:13]
                                        ; implicit-def: $vgpr4_vgpr5
                                        ; implicit-def: $vgpr12_vgpr13
	s_wait_kmcnt 0x0
	global_store_b128 v0, v[6:9], s[2:3] scale_offset th:TH_STORE_NT
                                        ; implicit-def: $vgpr0
                                        ; implicit-def: $vgpr6_vgpr7
.LBB12_13:
	s_wait_xcnt 0x0
	s_and_not1_saveexec_b32 s0, s0
	s_cbranch_execz .LBB12_15
; %bb.14:
	s_wait_kmcnt 0x0
	global_load_b128 v[14:17], v0, s[2:3] scale_offset th:TH_LOAD_NT
	v_mul_f64_e64 v[18:19], v[10:11], -v[4:5]
	v_mul_f64_e32 v[10:11], v[2:3], v[10:11]
	s_delay_alu instid0(VALU_DEP_2) | instskip(NEXT) | instid1(VALU_DEP_2)
	v_fmac_f64_e32 v[18:19], v[2:3], v[12:13]
	v_fmac_f64_e32 v[10:11], v[4:5], v[12:13]
	s_wait_loadcnt 0x0
	s_delay_alu instid0(VALU_DEP_2) | instskip(NEXT) | instid1(VALU_DEP_2)
	v_fmac_f64_e32 v[18:19], v[6:7], v[14:15]
	v_fmac_f64_e32 v[10:11], v[8:9], v[14:15]
	s_delay_alu instid0(VALU_DEP_2) | instskip(NEXT) | instid1(VALU_DEP_2)
	v_fma_f64 v[8:9], -v[8:9], v[16:17], v[18:19]
	v_fmac_f64_e32 v[10:11], v[6:7], v[16:17]
	global_store_b128 v0, v[8:11], s[2:3] scale_offset th:TH_STORE_NT
.LBB12_15:
	s_endpgm
	.section	.rodata,"a",@progbits
	.p2align	6, 0x0
	.amdhsa_kernel _ZN9rocsparseL13ellmvn_kernelILj512Ei21rocsparse_complex_numIdES2_S2_S2_EEvT0_S3_S3_NS_24const_host_device_scalarIT4_EEPKS3_PKT1_PKT2_S6_PT3_21rocsparse_index_base_b
		.amdhsa_group_segment_fixed_size 0
		.amdhsa_private_segment_fixed_size 0
		.amdhsa_kernarg_size 88
		.amdhsa_user_sgpr_count 2
		.amdhsa_user_sgpr_dispatch_ptr 0
		.amdhsa_user_sgpr_queue_ptr 0
		.amdhsa_user_sgpr_kernarg_segment_ptr 1
		.amdhsa_user_sgpr_dispatch_id 0
		.amdhsa_user_sgpr_kernarg_preload_length 0
		.amdhsa_user_sgpr_kernarg_preload_offset 0
		.amdhsa_user_sgpr_private_segment_size 0
		.amdhsa_wavefront_size32 1
		.amdhsa_uses_dynamic_stack 0
		.amdhsa_enable_private_segment 0
		.amdhsa_system_sgpr_workgroup_id_x 1
		.amdhsa_system_sgpr_workgroup_id_y 0
		.amdhsa_system_sgpr_workgroup_id_z 0
		.amdhsa_system_sgpr_workgroup_info 0
		.amdhsa_system_vgpr_workitem_id 0
		.amdhsa_next_free_vgpr 26
		.amdhsa_next_free_sgpr 16
		.amdhsa_named_barrier_count 0
		.amdhsa_reserve_vcc 1
		.amdhsa_float_round_mode_32 0
		.amdhsa_float_round_mode_16_64 0
		.amdhsa_float_denorm_mode_32 3
		.amdhsa_float_denorm_mode_16_64 3
		.amdhsa_fp16_overflow 0
		.amdhsa_memory_ordered 1
		.amdhsa_forward_progress 1
		.amdhsa_inst_pref_size 6
		.amdhsa_round_robin_scheduling 0
		.amdhsa_exception_fp_ieee_invalid_op 0
		.amdhsa_exception_fp_denorm_src 0
		.amdhsa_exception_fp_ieee_div_zero 0
		.amdhsa_exception_fp_ieee_overflow 0
		.amdhsa_exception_fp_ieee_underflow 0
		.amdhsa_exception_fp_ieee_inexact 0
		.amdhsa_exception_int_div_zero 0
	.end_amdhsa_kernel
	.section	.text._ZN9rocsparseL13ellmvn_kernelILj512Ei21rocsparse_complex_numIdES2_S2_S2_EEvT0_S3_S3_NS_24const_host_device_scalarIT4_EEPKS3_PKT1_PKT2_S6_PT3_21rocsparse_index_base_b,"axG",@progbits,_ZN9rocsparseL13ellmvn_kernelILj512Ei21rocsparse_complex_numIdES2_S2_S2_EEvT0_S3_S3_NS_24const_host_device_scalarIT4_EEPKS3_PKT1_PKT2_S6_PT3_21rocsparse_index_base_b,comdat
.Lfunc_end12:
	.size	_ZN9rocsparseL13ellmvn_kernelILj512Ei21rocsparse_complex_numIdES2_S2_S2_EEvT0_S3_S3_NS_24const_host_device_scalarIT4_EEPKS3_PKT1_PKT2_S6_PT3_21rocsparse_index_base_b, .Lfunc_end12-_ZN9rocsparseL13ellmvn_kernelILj512Ei21rocsparse_complex_numIdES2_S2_S2_EEvT0_S3_S3_NS_24const_host_device_scalarIT4_EEPKS3_PKT1_PKT2_S6_PT3_21rocsparse_index_base_b
                                        ; -- End function
	.set _ZN9rocsparseL13ellmvn_kernelILj512Ei21rocsparse_complex_numIdES2_S2_S2_EEvT0_S3_S3_NS_24const_host_device_scalarIT4_EEPKS3_PKT1_PKT2_S6_PT3_21rocsparse_index_base_b.num_vgpr, 26
	.set _ZN9rocsparseL13ellmvn_kernelILj512Ei21rocsparse_complex_numIdES2_S2_S2_EEvT0_S3_S3_NS_24const_host_device_scalarIT4_EEPKS3_PKT1_PKT2_S6_PT3_21rocsparse_index_base_b.num_agpr, 0
	.set _ZN9rocsparseL13ellmvn_kernelILj512Ei21rocsparse_complex_numIdES2_S2_S2_EEvT0_S3_S3_NS_24const_host_device_scalarIT4_EEPKS3_PKT1_PKT2_S6_PT3_21rocsparse_index_base_b.numbered_sgpr, 16
	.set _ZN9rocsparseL13ellmvn_kernelILj512Ei21rocsparse_complex_numIdES2_S2_S2_EEvT0_S3_S3_NS_24const_host_device_scalarIT4_EEPKS3_PKT1_PKT2_S6_PT3_21rocsparse_index_base_b.num_named_barrier, 0
	.set _ZN9rocsparseL13ellmvn_kernelILj512Ei21rocsparse_complex_numIdES2_S2_S2_EEvT0_S3_S3_NS_24const_host_device_scalarIT4_EEPKS3_PKT1_PKT2_S6_PT3_21rocsparse_index_base_b.private_seg_size, 0
	.set _ZN9rocsparseL13ellmvn_kernelILj512Ei21rocsparse_complex_numIdES2_S2_S2_EEvT0_S3_S3_NS_24const_host_device_scalarIT4_EEPKS3_PKT1_PKT2_S6_PT3_21rocsparse_index_base_b.uses_vcc, 1
	.set _ZN9rocsparseL13ellmvn_kernelILj512Ei21rocsparse_complex_numIdES2_S2_S2_EEvT0_S3_S3_NS_24const_host_device_scalarIT4_EEPKS3_PKT1_PKT2_S6_PT3_21rocsparse_index_base_b.uses_flat_scratch, 0
	.set _ZN9rocsparseL13ellmvn_kernelILj512Ei21rocsparse_complex_numIdES2_S2_S2_EEvT0_S3_S3_NS_24const_host_device_scalarIT4_EEPKS3_PKT1_PKT2_S6_PT3_21rocsparse_index_base_b.has_dyn_sized_stack, 0
	.set _ZN9rocsparseL13ellmvn_kernelILj512Ei21rocsparse_complex_numIdES2_S2_S2_EEvT0_S3_S3_NS_24const_host_device_scalarIT4_EEPKS3_PKT1_PKT2_S6_PT3_21rocsparse_index_base_b.has_recursion, 0
	.set _ZN9rocsparseL13ellmvn_kernelILj512Ei21rocsparse_complex_numIdES2_S2_S2_EEvT0_S3_S3_NS_24const_host_device_scalarIT4_EEPKS3_PKT1_PKT2_S6_PT3_21rocsparse_index_base_b.has_indirect_call, 0
	.section	.AMDGPU.csdata,"",@progbits
; Kernel info:
; codeLenInByte = 720
; TotalNumSgprs: 18
; NumVgprs: 26
; ScratchSize: 0
; MemoryBound: 0
; FloatMode: 240
; IeeeMode: 1
; LDSByteSize: 0 bytes/workgroup (compile time only)
; SGPRBlocks: 0
; VGPRBlocks: 1
; NumSGPRsForWavesPerEU: 18
; NumVGPRsForWavesPerEU: 26
; NamedBarCnt: 0
; Occupancy: 16
; WaveLimiterHint : 1
; COMPUTE_PGM_RSRC2:SCRATCH_EN: 0
; COMPUTE_PGM_RSRC2:USER_SGPR: 2
; COMPUTE_PGM_RSRC2:TRAP_HANDLER: 0
; COMPUTE_PGM_RSRC2:TGID_X_EN: 1
; COMPUTE_PGM_RSRC2:TGID_Y_EN: 0
; COMPUTE_PGM_RSRC2:TGID_Z_EN: 0
; COMPUTE_PGM_RSRC2:TIDIG_COMP_CNT: 0
	.section	.text._ZN9rocsparseL13ellmvt_kernelILj1024Ei21rocsparse_complex_numIdES2_S2_S2_EEv20rocsparse_operation_T0_S4_S4_NS_24const_host_device_scalarIT4_EEPKS4_PKT1_PKT2_PT3_21rocsparse_index_base_b,"axG",@progbits,_ZN9rocsparseL13ellmvt_kernelILj1024Ei21rocsparse_complex_numIdES2_S2_S2_EEv20rocsparse_operation_T0_S4_S4_NS_24const_host_device_scalarIT4_EEPKS4_PKT1_PKT2_PT3_21rocsparse_index_base_b,comdat
	.globl	_ZN9rocsparseL13ellmvt_kernelILj1024Ei21rocsparse_complex_numIdES2_S2_S2_EEv20rocsparse_operation_T0_S4_S4_NS_24const_host_device_scalarIT4_EEPKS4_PKT1_PKT2_PT3_21rocsparse_index_base_b ; -- Begin function _ZN9rocsparseL13ellmvt_kernelILj1024Ei21rocsparse_complex_numIdES2_S2_S2_EEv20rocsparse_operation_T0_S4_S4_NS_24const_host_device_scalarIT4_EEPKS4_PKT1_PKT2_PT3_21rocsparse_index_base_b
	.p2align	8
	.type	_ZN9rocsparseL13ellmvt_kernelILj1024Ei21rocsparse_complex_numIdES2_S2_S2_EEv20rocsparse_operation_T0_S4_S4_NS_24const_host_device_scalarIT4_EEPKS4_PKT1_PKT2_PT3_21rocsparse_index_base_b,@function
_ZN9rocsparseL13ellmvt_kernelILj1024Ei21rocsparse_complex_numIdES2_S2_S2_EEv20rocsparse_operation_T0_S4_S4_NS_24const_host_device_scalarIT4_EEPKS4_PKT1_PKT2_PT3_21rocsparse_index_base_b: ; @_ZN9rocsparseL13ellmvt_kernelILj1024Ei21rocsparse_complex_numIdES2_S2_S2_EEv20rocsparse_operation_T0_S4_S4_NS_24const_host_device_scalarIT4_EEPKS4_PKT1_PKT2_PT3_21rocsparse_index_base_b
; %bb.0:
	s_clause 0x1
	s_load_b64 s[16:17], s[0:1], 0x40
	s_load_b64 s[2:3], s[0:1], 0x10
	v_mov_b32_e32 v1, 0
	s_add_nc_u64 s[4:5], s[0:1], 16
	s_wait_kmcnt 0x0
	s_bitcmp1_b32 s17, 0
	s_cselect_b32 s3, s5, s3
	s_cselect_b32 s2, s4, s2
	flat_load_b128 v[2:5], v1, s[2:3]
	s_wait_loadcnt_dscnt 0x0
	v_cmp_neq_f64_e32 vcc_lo, 0, v[2:3]
	v_cmp_neq_f64_e64 s2, 0, v[4:5]
	s_or_b32 s2, vcc_lo, s2
	s_delay_alu instid0(SALU_CYCLE_1)
	s_and_saveexec_b32 s3, s2
	s_cbranch_execz .LBB13_7
; %bb.1:
	s_load_b128 s[12:15], s[0:1], 0x0
	s_bfe_u32 s2, ttmp6, 0x4000c
	s_and_b32 s3, ttmp6, 15
	s_add_co_i32 s2, s2, 1
	s_getreg_b32 s4, hwreg(HW_REG_IB_STS2, 6, 4)
	s_mul_i32 s2, ttmp9, s2
	s_delay_alu instid0(SALU_CYCLE_1) | instskip(SKIP_2) | instid1(SALU_CYCLE_1)
	s_add_co_i32 s3, s3, s2
	s_cmp_eq_u32 s4, 0
	s_cselect_b32 s2, ttmp9, s3
	v_lshl_or_b32 v8, s2, 10, v0
	s_wait_kmcnt 0x0
	s_delay_alu instid0(VALU_DEP_1)
	v_cmp_gt_i32_e32 vcc_lo, s13, v8
	s_and_b32 exec_lo, exec_lo, vcc_lo
	s_cbranch_execz .LBB13_7
; %bb.2:
	s_cmp_lt_i32 s15, 1
	s_cbranch_scc1 .LBB13_7
; %bb.3:
	s_load_b256 s[4:11], s[0:1], 0x20
	v_ashrrev_i32_e32 v9, 31, v8
	s_wait_xcnt 0x0
	s_ashr_i32 s1, s13, 31
	s_cmp_eq_u32 s12, 0x71
	s_mov_b32 s0, s13
	s_cselect_b32 vcc_lo, -1, 0
	s_lshl_b64 s[2:3], s[0:1], 2
	s_wait_kmcnt 0x0
	global_load_b128 v[10:13], v8, s[8:9] scale_offset
	s_wait_loadcnt 0x0
	v_mul_f64_e64 v[0:1], v[12:13], -v[4:5]
	v_mul_f64_e32 v[6:7], v[2:3], v[12:13]
	s_delay_alu instid0(VALU_DEP_2) | instskip(NEXT) | instid1(VALU_DEP_2)
	v_fmac_f64_e32 v[0:1], v[2:3], v[10:11]
	v_fmac_f64_e32 v[6:7], v[4:5], v[10:11]
	v_lshl_add_u64 v[2:3], v[8:9], 4, s[6:7]
	v_lshl_add_u64 v[4:5], v[8:9], 2, s[4:5]
	v_mov_b32_e32 v9, 0
	s_lshl_b64 s[4:5], s[0:1], 4
	s_mov_b32 s6, 0
	v_add_nc_u64_e32 v[2:3], 8, v[2:3]
                                        ; implicit-def: $sgpr7
	s_branch .LBB13_5
.LBB13_4:                               ;   in Loop: Header=BB13_5 Depth=1
	s_wait_xcnt 0x0
	s_or_b32 exec_lo, exec_lo, s0
	s_delay_alu instid0(SALU_CYCLE_1) | instskip(NEXT) | instid1(SALU_CYCLE_1)
	s_and_b32 s0, exec_lo, s7
	s_or_b32 s6, s0, s6
	s_delay_alu instid0(SALU_CYCLE_1)
	s_and_not1_b32 exec_lo, exec_lo, s6
	s_cbranch_execz .LBB13_7
.LBB13_5:                               ; =>This Inner Loop Header: Depth=1
	global_load_b32 v8, v[4:5], off th:TH_LOAD_NT
	s_or_b32 s7, s7, exec_lo
	s_wait_loadcnt 0x0
	v_subrev_nc_u32_e32 v8, s16, v8
	s_delay_alu instid0(VALU_DEP_1)
	v_cmp_lt_i32_e64 s0, -1, v8
	v_cmp_gt_i32_e64 s1, s14, v8
	s_and_b32 s1, s0, s1
	s_wait_xcnt 0x0
	s_and_saveexec_b32 s0, s1
	s_cbranch_execz .LBB13_4
; %bb.6:                                ;   in Loop: Header=BB13_5 Depth=1
	global_load_b128 v[10:13], v[2:3], off offset:-8 th:TH_LOAD_NT
	s_add_co_i32 s15, s15, -1
	v_add_nc_u64_e32 v[4:5], s[2:3], v[4:5]
	s_cmp_eq_u32 s15, 0
	s_wait_xcnt 0x0
	v_add_nc_u64_e32 v[2:3], s[4:5], v[2:3]
	s_cselect_b32 s1, -1, 0
	s_and_not1_b32 s7, s7, exec_lo
	s_and_b32 s1, s1, exec_lo
	s_delay_alu instid0(SALU_CYCLE_1) | instskip(SKIP_2) | instid1(VALU_DEP_1)
	s_or_b32 s7, s7, s1
	s_wait_loadcnt 0x0
	v_xor_b32_e32 v14, 0x80000000, v13
	v_cndmask_b32_e32 v13, v13, v14, vcc_lo
	s_delay_alu instid0(VALU_DEP_1) | instskip(SKIP_1) | instid1(VALU_DEP_2)
	v_mul_f64_e64 v[14:15], v[12:13], -v[6:7]
	v_mul_f64_e32 v[12:13], v[0:1], v[12:13]
	v_fmac_f64_e32 v[14:15], v[0:1], v[10:11]
	s_delay_alu instid0(VALU_DEP_2)
	v_fmac_f64_e32 v[12:13], v[6:7], v[10:11]
	v_lshl_add_u64 v[10:11], v[8:9], 4, s[10:11]
	global_atomic_add_f64 v[10:11], v[14:15], off scope:SCOPE_DEV
	s_wait_xcnt 0x0
	global_atomic_add_f64 v[10:11], v[12:13], off offset:8 scope:SCOPE_DEV
	s_branch .LBB13_4
.LBB13_7:
	s_endpgm
	.section	.rodata,"a",@progbits
	.p2align	6, 0x0
	.amdhsa_kernel _ZN9rocsparseL13ellmvt_kernelILj1024Ei21rocsparse_complex_numIdES2_S2_S2_EEv20rocsparse_operation_T0_S4_S4_NS_24const_host_device_scalarIT4_EEPKS4_PKT1_PKT2_PT3_21rocsparse_index_base_b
		.amdhsa_group_segment_fixed_size 0
		.amdhsa_private_segment_fixed_size 0
		.amdhsa_kernarg_size 72
		.amdhsa_user_sgpr_count 2
		.amdhsa_user_sgpr_dispatch_ptr 0
		.amdhsa_user_sgpr_queue_ptr 0
		.amdhsa_user_sgpr_kernarg_segment_ptr 1
		.amdhsa_user_sgpr_dispatch_id 0
		.amdhsa_user_sgpr_kernarg_preload_length 0
		.amdhsa_user_sgpr_kernarg_preload_offset 0
		.amdhsa_user_sgpr_private_segment_size 0
		.amdhsa_wavefront_size32 1
		.amdhsa_uses_dynamic_stack 0
		.amdhsa_enable_private_segment 0
		.amdhsa_system_sgpr_workgroup_id_x 1
		.amdhsa_system_sgpr_workgroup_id_y 0
		.amdhsa_system_sgpr_workgroup_id_z 0
		.amdhsa_system_sgpr_workgroup_info 0
		.amdhsa_system_vgpr_workitem_id 0
		.amdhsa_next_free_vgpr 16
		.amdhsa_next_free_sgpr 18
		.amdhsa_named_barrier_count 0
		.amdhsa_reserve_vcc 1
		.amdhsa_float_round_mode_32 0
		.amdhsa_float_round_mode_16_64 0
		.amdhsa_float_denorm_mode_32 3
		.amdhsa_float_denorm_mode_16_64 3
		.amdhsa_fp16_overflow 0
		.amdhsa_memory_ordered 1
		.amdhsa_forward_progress 1
		.amdhsa_inst_pref_size 5
		.amdhsa_round_robin_scheduling 0
		.amdhsa_exception_fp_ieee_invalid_op 0
		.amdhsa_exception_fp_denorm_src 0
		.amdhsa_exception_fp_ieee_div_zero 0
		.amdhsa_exception_fp_ieee_overflow 0
		.amdhsa_exception_fp_ieee_underflow 0
		.amdhsa_exception_fp_ieee_inexact 0
		.amdhsa_exception_int_div_zero 0
	.end_amdhsa_kernel
	.section	.text._ZN9rocsparseL13ellmvt_kernelILj1024Ei21rocsparse_complex_numIdES2_S2_S2_EEv20rocsparse_operation_T0_S4_S4_NS_24const_host_device_scalarIT4_EEPKS4_PKT1_PKT2_PT3_21rocsparse_index_base_b,"axG",@progbits,_ZN9rocsparseL13ellmvt_kernelILj1024Ei21rocsparse_complex_numIdES2_S2_S2_EEv20rocsparse_operation_T0_S4_S4_NS_24const_host_device_scalarIT4_EEPKS4_PKT1_PKT2_PT3_21rocsparse_index_base_b,comdat
.Lfunc_end13:
	.size	_ZN9rocsparseL13ellmvt_kernelILj1024Ei21rocsparse_complex_numIdES2_S2_S2_EEv20rocsparse_operation_T0_S4_S4_NS_24const_host_device_scalarIT4_EEPKS4_PKT1_PKT2_PT3_21rocsparse_index_base_b, .Lfunc_end13-_ZN9rocsparseL13ellmvt_kernelILj1024Ei21rocsparse_complex_numIdES2_S2_S2_EEv20rocsparse_operation_T0_S4_S4_NS_24const_host_device_scalarIT4_EEPKS4_PKT1_PKT2_PT3_21rocsparse_index_base_b
                                        ; -- End function
	.set _ZN9rocsparseL13ellmvt_kernelILj1024Ei21rocsparse_complex_numIdES2_S2_S2_EEv20rocsparse_operation_T0_S4_S4_NS_24const_host_device_scalarIT4_EEPKS4_PKT1_PKT2_PT3_21rocsparse_index_base_b.num_vgpr, 16
	.set _ZN9rocsparseL13ellmvt_kernelILj1024Ei21rocsparse_complex_numIdES2_S2_S2_EEv20rocsparse_operation_T0_S4_S4_NS_24const_host_device_scalarIT4_EEPKS4_PKT1_PKT2_PT3_21rocsparse_index_base_b.num_agpr, 0
	.set _ZN9rocsparseL13ellmvt_kernelILj1024Ei21rocsparse_complex_numIdES2_S2_S2_EEv20rocsparse_operation_T0_S4_S4_NS_24const_host_device_scalarIT4_EEPKS4_PKT1_PKT2_PT3_21rocsparse_index_base_b.numbered_sgpr, 18
	.set _ZN9rocsparseL13ellmvt_kernelILj1024Ei21rocsparse_complex_numIdES2_S2_S2_EEv20rocsparse_operation_T0_S4_S4_NS_24const_host_device_scalarIT4_EEPKS4_PKT1_PKT2_PT3_21rocsparse_index_base_b.num_named_barrier, 0
	.set _ZN9rocsparseL13ellmvt_kernelILj1024Ei21rocsparse_complex_numIdES2_S2_S2_EEv20rocsparse_operation_T0_S4_S4_NS_24const_host_device_scalarIT4_EEPKS4_PKT1_PKT2_PT3_21rocsparse_index_base_b.private_seg_size, 0
	.set _ZN9rocsparseL13ellmvt_kernelILj1024Ei21rocsparse_complex_numIdES2_S2_S2_EEv20rocsparse_operation_T0_S4_S4_NS_24const_host_device_scalarIT4_EEPKS4_PKT1_PKT2_PT3_21rocsparse_index_base_b.uses_vcc, 1
	.set _ZN9rocsparseL13ellmvt_kernelILj1024Ei21rocsparse_complex_numIdES2_S2_S2_EEv20rocsparse_operation_T0_S4_S4_NS_24const_host_device_scalarIT4_EEPKS4_PKT1_PKT2_PT3_21rocsparse_index_base_b.uses_flat_scratch, 0
	.set _ZN9rocsparseL13ellmvt_kernelILj1024Ei21rocsparse_complex_numIdES2_S2_S2_EEv20rocsparse_operation_T0_S4_S4_NS_24const_host_device_scalarIT4_EEPKS4_PKT1_PKT2_PT3_21rocsparse_index_base_b.has_dyn_sized_stack, 0
	.set _ZN9rocsparseL13ellmvt_kernelILj1024Ei21rocsparse_complex_numIdES2_S2_S2_EEv20rocsparse_operation_T0_S4_S4_NS_24const_host_device_scalarIT4_EEPKS4_PKT1_PKT2_PT3_21rocsparse_index_base_b.has_recursion, 0
	.set _ZN9rocsparseL13ellmvt_kernelILj1024Ei21rocsparse_complex_numIdES2_S2_S2_EEv20rocsparse_operation_T0_S4_S4_NS_24const_host_device_scalarIT4_EEPKS4_PKT1_PKT2_PT3_21rocsparse_index_base_b.has_indirect_call, 0
	.section	.AMDGPU.csdata,"",@progbits
; Kernel info:
; codeLenInByte = 524
; TotalNumSgprs: 20
; NumVgprs: 16
; ScratchSize: 0
; MemoryBound: 0
; FloatMode: 240
; IeeeMode: 1
; LDSByteSize: 0 bytes/workgroup (compile time only)
; SGPRBlocks: 0
; VGPRBlocks: 0
; NumSGPRsForWavesPerEU: 20
; NumVGPRsForWavesPerEU: 16
; NamedBarCnt: 0
; Occupancy: 16
; WaveLimiterHint : 1
; COMPUTE_PGM_RSRC2:SCRATCH_EN: 0
; COMPUTE_PGM_RSRC2:USER_SGPR: 2
; COMPUTE_PGM_RSRC2:TRAP_HANDLER: 0
; COMPUTE_PGM_RSRC2:TGID_X_EN: 1
; COMPUTE_PGM_RSRC2:TGID_Y_EN: 0
; COMPUTE_PGM_RSRC2:TGID_Z_EN: 0
; COMPUTE_PGM_RSRC2:TIDIG_COMP_CNT: 0
	.section	.text._ZN9rocsparseL13ellmvn_kernelILj512El21rocsparse_complex_numIdES2_S2_S2_EEvT0_S3_S3_NS_24const_host_device_scalarIT4_EEPKS3_PKT1_PKT2_S6_PT3_21rocsparse_index_base_b,"axG",@progbits,_ZN9rocsparseL13ellmvn_kernelILj512El21rocsparse_complex_numIdES2_S2_S2_EEvT0_S3_S3_NS_24const_host_device_scalarIT4_EEPKS3_PKT1_PKT2_S6_PT3_21rocsparse_index_base_b,comdat
	.globl	_ZN9rocsparseL13ellmvn_kernelILj512El21rocsparse_complex_numIdES2_S2_S2_EEvT0_S3_S3_NS_24const_host_device_scalarIT4_EEPKS3_PKT1_PKT2_S6_PT3_21rocsparse_index_base_b ; -- Begin function _ZN9rocsparseL13ellmvn_kernelILj512El21rocsparse_complex_numIdES2_S2_S2_EEvT0_S3_S3_NS_24const_host_device_scalarIT4_EEPKS3_PKT1_PKT2_S6_PT3_21rocsparse_index_base_b
	.p2align	8
	.type	_ZN9rocsparseL13ellmvn_kernelILj512El21rocsparse_complex_numIdES2_S2_S2_EEvT0_S3_S3_NS_24const_host_device_scalarIT4_EEPKS3_PKT1_PKT2_S6_PT3_21rocsparse_index_base_b,@function
_ZN9rocsparseL13ellmvn_kernelILj512El21rocsparse_complex_numIdES2_S2_S2_EEvT0_S3_S3_NS_24const_host_device_scalarIT4_EEPKS3_PKT1_PKT2_S6_PT3_21rocsparse_index_base_b: ; @_ZN9rocsparseL13ellmvn_kernelILj512El21rocsparse_complex_numIdES2_S2_S2_EEvT0_S3_S3_NS_24const_host_device_scalarIT4_EEPKS3_PKT1_PKT2_S6_PT3_21rocsparse_index_base_b
; %bb.0:
	s_clause 0x1
	s_load_b64 s[12:13], s[0:1], 0x58
	s_load_b256 s[4:11], s[0:1], 0x0
	v_mov_b32_e32 v1, 0
	s_add_nc_u64 s[2:3], s[0:1], 24
	s_load_b64 s[14:15], s[0:1], 0x40
	s_wait_kmcnt 0x0
	s_bitcmp1_b32 s13, 0
	s_cselect_b32 s3, s3, s11
	s_cselect_b32 s2, s2, s10
	flat_load_b128 v[2:5], v1, s[2:3]
	s_wait_xcnt 0x0
	s_add_nc_u64 s[2:3], s[0:1], 64
	s_delay_alu instid0(SALU_CYCLE_1)
	s_cselect_b32 s3, s3, s15
	s_cselect_b32 s2, s2, s14
	flat_load_b128 v[6:9], v1, s[2:3]
	s_wait_loadcnt_dscnt 0x101
	v_cmp_eq_f64_e32 vcc_lo, 0, v[2:3]
	s_wait_xcnt 0x0
	v_cmp_eq_f64_e64 s2, 0, v[4:5]
	s_and_b32 s10, vcc_lo, s2
	s_mov_b32 s2, -1
	s_and_saveexec_b32 s3, s10
	s_cbranch_execz .LBB14_2
; %bb.1:
	s_wait_loadcnt_dscnt 0x0
	v_cmp_neq_f64_e32 vcc_lo, 1.0, v[6:7]
	v_cmp_neq_f64_e64 s2, 0, v[8:9]
	s_or_b32 s2, vcc_lo, s2
	s_delay_alu instid0(SALU_CYCLE_1)
	s_or_not1_b32 s2, s2, exec_lo
.LBB14_2:
	s_or_b32 exec_lo, exec_lo, s3
	s_and_saveexec_b32 s3, s2
	s_cbranch_execz .LBB14_15
; %bb.3:
	s_bfe_u32 s2, ttmp6, 0x4000c
	s_and_b32 s3, ttmp6, 15
	s_add_co_i32 s2, s2, 1
	s_getreg_b32 s10, hwreg(HW_REG_IB_STS2, 6, 4)
	s_mul_i32 s2, ttmp9, s2
	v_mov_b32_e32 v1, 0
	s_add_co_i32 s3, s3, s2
	s_cmp_eq_u32 s10, 0
	s_cselect_b32 s2, ttmp9, s3
	s_delay_alu instid0(SALU_CYCLE_1) | instskip(NEXT) | instid1(VALU_DEP_1)
	v_lshl_or_b32 v0, s2, 9, v0
	v_cmp_gt_i64_e32 vcc_lo, s[4:5], v[0:1]
	s_and_b32 exec_lo, exec_lo, vcc_lo
	s_cbranch_execz .LBB14_15
; %bb.4:
	v_cmp_lt_i64_e64 s2, s[8:9], 1
	s_and_b32 vcc_lo, exec_lo, s2
	s_cbranch_vccnz .LBB14_10
; %bb.5:
	s_clause 0x1
	s_load_b128 s[16:19], s[0:1], 0x28
	s_load_b64 s[10:11], s[0:1], 0x38
	v_mov_b64_e32 v[10:11], 0
	s_mov_b32 s13, 0
	s_lshl_b64 s[14:15], s[4:5], 3
	s_lshl_b64 s[4:5], s[4:5], 4
	s_mov_b32 s3, s13
	s_wait_kmcnt 0x0
	v_lshl_add_u64 v[12:13], v[0:1], 4, s[18:19]
	v_lshl_add_u64 v[16:17], v[0:1], 3, s[16:17]
                                        ; implicit-def: $sgpr16
	s_delay_alu instid0(VALU_DEP_2)
	v_add_nc_u64_e32 v[14:15], 8, v[12:13]
	v_mov_b64_e32 v[12:13], 0
	s_branch .LBB14_7
.LBB14_6:                               ;   in Loop: Header=BB14_7 Depth=1
	s_or_b32 exec_lo, exec_lo, s2
	s_delay_alu instid0(SALU_CYCLE_1) | instskip(NEXT) | instid1(SALU_CYCLE_1)
	s_and_b32 s2, exec_lo, s16
	s_or_b32 s3, s2, s3
	s_delay_alu instid0(SALU_CYCLE_1)
	s_and_not1_b32 exec_lo, exec_lo, s3
	s_cbranch_execz .LBB14_9
.LBB14_7:                               ; =>This Inner Loop Header: Depth=1
	global_load_b64 v[18:19], v[16:17], off th:TH_LOAD_NT
	s_or_b32 s16, s16, exec_lo
	s_wait_loadcnt 0x0
	v_sub_nc_u64_e64 v[18:19], v[18:19], s[12:13]
	s_delay_alu instid0(VALU_DEP_1) | instskip(SKIP_2) | instid1(SALU_CYCLE_1)
	v_cmp_lt_i64_e32 vcc_lo, -1, v[18:19]
	v_cmp_gt_i64_e64 s2, s[6:7], v[18:19]
	s_and_b32 s17, vcc_lo, s2
	s_and_saveexec_b32 s2, s17
	s_cbranch_execz .LBB14_6
; %bb.8:                                ;   in Loop: Header=BB14_7 Depth=1
	v_lshl_add_u64 v[26:27], v[18:19], 4, s[10:11]
	s_add_nc_u64 s[8:9], s[8:9], -1
	v_add_nc_u64_e32 v[16:17], s[14:15], v[16:17]
	s_cmp_eq_u64 s[8:9], 0
	global_load_b128 v[18:21], v[14:15], off offset:-8 th:TH_LOAD_NT
	global_load_b128 v[22:25], v[26:27], off
	s_wait_xcnt 0x1
	v_add_nc_u64_e32 v[14:15], s[4:5], v[14:15]
	s_cselect_b32 s17, -1, 0
	s_and_not1_b32 s16, s16, exec_lo
	s_and_b32 s17, s17, exec_lo
	s_delay_alu instid0(SALU_CYCLE_1) | instskip(SKIP_3) | instid1(VALU_DEP_2)
	s_or_b32 s16, s16, s17
	s_wait_loadcnt 0x0
	v_fmac_f64_e32 v[12:13], v[18:19], v[22:23]
	v_fmac_f64_e32 v[10:11], v[20:21], v[22:23]
	v_fma_f64 v[12:13], -v[20:21], v[24:25], v[12:13]
	s_delay_alu instid0(VALU_DEP_2)
	v_fmac_f64_e32 v[10:11], v[18:19], v[24:25]
	s_branch .LBB14_6
.LBB14_9:
	s_or_b32 exec_lo, exec_lo, s3
	s_branch .LBB14_11
.LBB14_10:
	v_mov_b64_e32 v[10:11], 0
	v_mov_b64_e32 v[12:13], 0
.LBB14_11:
	s_load_b64 s[2:3], s[0:1], 0x50
	s_wait_loadcnt_dscnt 0x0
	v_cmp_eq_f64_e32 vcc_lo, 0, v[6:7]
	s_wait_xcnt 0x0
	v_cmp_eq_f64_e64 s0, 0, v[8:9]
	s_and_b32 s0, vcc_lo, s0
	s_delay_alu instid0(SALU_CYCLE_1) | instskip(NEXT) | instid1(SALU_CYCLE_1)
	s_and_saveexec_b32 s1, s0
	s_xor_b32 s0, exec_lo, s1
	s_cbranch_execz .LBB14_13
; %bb.12:
	v_mul_f64_e64 v[6:7], v[10:11], -v[4:5]
	v_mul_f64_e32 v[8:9], v[2:3], v[10:11]
	s_wait_kmcnt 0x0
	v_lshl_add_u64 v[0:1], v[0:1], 4, s[2:3]
                                        ; implicit-def: $vgpr10_vgpr11
	s_delay_alu instid0(VALU_DEP_3) | instskip(NEXT) | instid1(VALU_DEP_3)
	v_fmac_f64_e32 v[6:7], v[2:3], v[12:13]
	v_fmac_f64_e32 v[8:9], v[4:5], v[12:13]
                                        ; implicit-def: $vgpr4_vgpr5
                                        ; implicit-def: $vgpr12_vgpr13
	global_store_b128 v[0:1], v[6:9], off th:TH_STORE_NT
                                        ; implicit-def: $vgpr0_vgpr1
                                        ; implicit-def: $vgpr6_vgpr7
.LBB14_13:
	s_wait_xcnt 0x0
	s_and_not1_saveexec_b32 s0, s0
	s_cbranch_execz .LBB14_15
; %bb.14:
	s_wait_kmcnt 0x0
	v_lshl_add_u64 v[0:1], v[0:1], 4, s[2:3]
	v_mul_f64_e64 v[18:19], v[10:11], -v[4:5]
	v_mul_f64_e32 v[10:11], v[2:3], v[10:11]
	global_load_b128 v[14:17], v[0:1], off th:TH_LOAD_NT
	v_fmac_f64_e32 v[18:19], v[2:3], v[12:13]
	v_fmac_f64_e32 v[10:11], v[4:5], v[12:13]
	s_wait_loadcnt 0x0
	s_delay_alu instid0(VALU_DEP_2) | instskip(NEXT) | instid1(VALU_DEP_2)
	v_fmac_f64_e32 v[18:19], v[6:7], v[14:15]
	v_fmac_f64_e32 v[10:11], v[8:9], v[14:15]
	s_delay_alu instid0(VALU_DEP_2) | instskip(NEXT) | instid1(VALU_DEP_2)
	v_fma_f64 v[8:9], -v[8:9], v[16:17], v[18:19]
	v_fmac_f64_e32 v[10:11], v[6:7], v[16:17]
	global_store_b128 v[0:1], v[8:11], off th:TH_STORE_NT
.LBB14_15:
	s_endpgm
	.section	.rodata,"a",@progbits
	.p2align	6, 0x0
	.amdhsa_kernel _ZN9rocsparseL13ellmvn_kernelILj512El21rocsparse_complex_numIdES2_S2_S2_EEvT0_S3_S3_NS_24const_host_device_scalarIT4_EEPKS3_PKT1_PKT2_S6_PT3_21rocsparse_index_base_b
		.amdhsa_group_segment_fixed_size 0
		.amdhsa_private_segment_fixed_size 0
		.amdhsa_kernarg_size 96
		.amdhsa_user_sgpr_count 2
		.amdhsa_user_sgpr_dispatch_ptr 0
		.amdhsa_user_sgpr_queue_ptr 0
		.amdhsa_user_sgpr_kernarg_segment_ptr 1
		.amdhsa_user_sgpr_dispatch_id 0
		.amdhsa_user_sgpr_kernarg_preload_length 0
		.amdhsa_user_sgpr_kernarg_preload_offset 0
		.amdhsa_user_sgpr_private_segment_size 0
		.amdhsa_wavefront_size32 1
		.amdhsa_uses_dynamic_stack 0
		.amdhsa_enable_private_segment 0
		.amdhsa_system_sgpr_workgroup_id_x 1
		.amdhsa_system_sgpr_workgroup_id_y 0
		.amdhsa_system_sgpr_workgroup_id_z 0
		.amdhsa_system_sgpr_workgroup_info 0
		.amdhsa_system_vgpr_workitem_id 0
		.amdhsa_next_free_vgpr 28
		.amdhsa_next_free_sgpr 20
		.amdhsa_named_barrier_count 0
		.amdhsa_reserve_vcc 1
		.amdhsa_float_round_mode_32 0
		.amdhsa_float_round_mode_16_64 0
		.amdhsa_float_denorm_mode_32 3
		.amdhsa_float_denorm_mode_16_64 3
		.amdhsa_fp16_overflow 0
		.amdhsa_memory_ordered 1
		.amdhsa_forward_progress 1
		.amdhsa_inst_pref_size 6
		.amdhsa_round_robin_scheduling 0
		.amdhsa_exception_fp_ieee_invalid_op 0
		.amdhsa_exception_fp_denorm_src 0
		.amdhsa_exception_fp_ieee_div_zero 0
		.amdhsa_exception_fp_ieee_overflow 0
		.amdhsa_exception_fp_ieee_underflow 0
		.amdhsa_exception_fp_ieee_inexact 0
		.amdhsa_exception_int_div_zero 0
	.end_amdhsa_kernel
	.section	.text._ZN9rocsparseL13ellmvn_kernelILj512El21rocsparse_complex_numIdES2_S2_S2_EEvT0_S3_S3_NS_24const_host_device_scalarIT4_EEPKS3_PKT1_PKT2_S6_PT3_21rocsparse_index_base_b,"axG",@progbits,_ZN9rocsparseL13ellmvn_kernelILj512El21rocsparse_complex_numIdES2_S2_S2_EEvT0_S3_S3_NS_24const_host_device_scalarIT4_EEPKS3_PKT1_PKT2_S6_PT3_21rocsparse_index_base_b,comdat
.Lfunc_end14:
	.size	_ZN9rocsparseL13ellmvn_kernelILj512El21rocsparse_complex_numIdES2_S2_S2_EEvT0_S3_S3_NS_24const_host_device_scalarIT4_EEPKS3_PKT1_PKT2_S6_PT3_21rocsparse_index_base_b, .Lfunc_end14-_ZN9rocsparseL13ellmvn_kernelILj512El21rocsparse_complex_numIdES2_S2_S2_EEvT0_S3_S3_NS_24const_host_device_scalarIT4_EEPKS3_PKT1_PKT2_S6_PT3_21rocsparse_index_base_b
                                        ; -- End function
	.set _ZN9rocsparseL13ellmvn_kernelILj512El21rocsparse_complex_numIdES2_S2_S2_EEvT0_S3_S3_NS_24const_host_device_scalarIT4_EEPKS3_PKT1_PKT2_S6_PT3_21rocsparse_index_base_b.num_vgpr, 28
	.set _ZN9rocsparseL13ellmvn_kernelILj512El21rocsparse_complex_numIdES2_S2_S2_EEvT0_S3_S3_NS_24const_host_device_scalarIT4_EEPKS3_PKT1_PKT2_S6_PT3_21rocsparse_index_base_b.num_agpr, 0
	.set _ZN9rocsparseL13ellmvn_kernelILj512El21rocsparse_complex_numIdES2_S2_S2_EEvT0_S3_S3_NS_24const_host_device_scalarIT4_EEPKS3_PKT1_PKT2_S6_PT3_21rocsparse_index_base_b.numbered_sgpr, 20
	.set _ZN9rocsparseL13ellmvn_kernelILj512El21rocsparse_complex_numIdES2_S2_S2_EEvT0_S3_S3_NS_24const_host_device_scalarIT4_EEPKS3_PKT1_PKT2_S6_PT3_21rocsparse_index_base_b.num_named_barrier, 0
	.set _ZN9rocsparseL13ellmvn_kernelILj512El21rocsparse_complex_numIdES2_S2_S2_EEvT0_S3_S3_NS_24const_host_device_scalarIT4_EEPKS3_PKT1_PKT2_S6_PT3_21rocsparse_index_base_b.private_seg_size, 0
	.set _ZN9rocsparseL13ellmvn_kernelILj512El21rocsparse_complex_numIdES2_S2_S2_EEvT0_S3_S3_NS_24const_host_device_scalarIT4_EEPKS3_PKT1_PKT2_S6_PT3_21rocsparse_index_base_b.uses_vcc, 1
	.set _ZN9rocsparseL13ellmvn_kernelILj512El21rocsparse_complex_numIdES2_S2_S2_EEvT0_S3_S3_NS_24const_host_device_scalarIT4_EEPKS3_PKT1_PKT2_S6_PT3_21rocsparse_index_base_b.uses_flat_scratch, 0
	.set _ZN9rocsparseL13ellmvn_kernelILj512El21rocsparse_complex_numIdES2_S2_S2_EEvT0_S3_S3_NS_24const_host_device_scalarIT4_EEPKS3_PKT1_PKT2_S6_PT3_21rocsparse_index_base_b.has_dyn_sized_stack, 0
	.set _ZN9rocsparseL13ellmvn_kernelILj512El21rocsparse_complex_numIdES2_S2_S2_EEvT0_S3_S3_NS_24const_host_device_scalarIT4_EEPKS3_PKT1_PKT2_S6_PT3_21rocsparse_index_base_b.has_recursion, 0
	.set _ZN9rocsparseL13ellmvn_kernelILj512El21rocsparse_complex_numIdES2_S2_S2_EEvT0_S3_S3_NS_24const_host_device_scalarIT4_EEPKS3_PKT1_PKT2_S6_PT3_21rocsparse_index_base_b.has_indirect_call, 0
	.section	.AMDGPU.csdata,"",@progbits
; Kernel info:
; codeLenInByte = 732
; TotalNumSgprs: 22
; NumVgprs: 28
; ScratchSize: 0
; MemoryBound: 0
; FloatMode: 240
; IeeeMode: 1
; LDSByteSize: 0 bytes/workgroup (compile time only)
; SGPRBlocks: 0
; VGPRBlocks: 1
; NumSGPRsForWavesPerEU: 22
; NumVGPRsForWavesPerEU: 28
; NamedBarCnt: 0
; Occupancy: 16
; WaveLimiterHint : 1
; COMPUTE_PGM_RSRC2:SCRATCH_EN: 0
; COMPUTE_PGM_RSRC2:USER_SGPR: 2
; COMPUTE_PGM_RSRC2:TRAP_HANDLER: 0
; COMPUTE_PGM_RSRC2:TGID_X_EN: 1
; COMPUTE_PGM_RSRC2:TGID_Y_EN: 0
; COMPUTE_PGM_RSRC2:TGID_Z_EN: 0
; COMPUTE_PGM_RSRC2:TIDIG_COMP_CNT: 0
	.section	.text._ZN9rocsparseL13ellmvt_kernelILj1024El21rocsparse_complex_numIdES2_S2_S2_EEv20rocsparse_operation_T0_S4_S4_NS_24const_host_device_scalarIT4_EEPKS4_PKT1_PKT2_PT3_21rocsparse_index_base_b,"axG",@progbits,_ZN9rocsparseL13ellmvt_kernelILj1024El21rocsparse_complex_numIdES2_S2_S2_EEv20rocsparse_operation_T0_S4_S4_NS_24const_host_device_scalarIT4_EEPKS4_PKT1_PKT2_PT3_21rocsparse_index_base_b,comdat
	.globl	_ZN9rocsparseL13ellmvt_kernelILj1024El21rocsparse_complex_numIdES2_S2_S2_EEv20rocsparse_operation_T0_S4_S4_NS_24const_host_device_scalarIT4_EEPKS4_PKT1_PKT2_PT3_21rocsparse_index_base_b ; -- Begin function _ZN9rocsparseL13ellmvt_kernelILj1024El21rocsparse_complex_numIdES2_S2_S2_EEv20rocsparse_operation_T0_S4_S4_NS_24const_host_device_scalarIT4_EEPKS4_PKT1_PKT2_PT3_21rocsparse_index_base_b
	.p2align	8
	.type	_ZN9rocsparseL13ellmvt_kernelILj1024El21rocsparse_complex_numIdES2_S2_S2_EEv20rocsparse_operation_T0_S4_S4_NS_24const_host_device_scalarIT4_EEPKS4_PKT1_PKT2_PT3_21rocsparse_index_base_b,@function
_ZN9rocsparseL13ellmvt_kernelILj1024El21rocsparse_complex_numIdES2_S2_S2_EEv20rocsparse_operation_T0_S4_S4_NS_24const_host_device_scalarIT4_EEPKS4_PKT1_PKT2_PT3_21rocsparse_index_base_b: ; @_ZN9rocsparseL13ellmvt_kernelILj1024El21rocsparse_complex_numIdES2_S2_S2_EEv20rocsparse_operation_T0_S4_S4_NS_24const_host_device_scalarIT4_EEPKS4_PKT1_PKT2_PT3_21rocsparse_index_base_b
; %bb.0:
	s_clause 0x1
	s_load_b64 s[20:21], s[0:1], 0x50
	s_load_b256 s[4:11], s[0:1], 0x8
	v_mov_b32_e32 v9, 0
	s_add_nc_u64 s[2:3], s[0:1], 32
	s_wait_kmcnt 0x0
	s_bitcmp1_b32 s21, 0
	s_cselect_b32 s3, s3, s11
	s_cselect_b32 s2, s2, s10
	flat_load_b128 v[2:5], v9, s[2:3]
	s_wait_loadcnt_dscnt 0x0
	v_cmp_neq_f64_e32 vcc_lo, 0, v[2:3]
	v_cmp_neq_f64_e64 s2, 0, v[4:5]
	s_or_b32 s2, vcc_lo, s2
	s_delay_alu instid0(SALU_CYCLE_1)
	s_and_saveexec_b32 s3, s2
	s_cbranch_execz .LBB15_7
; %bb.1:
	s_bfe_u32 s2, ttmp6, 0x4000c
	s_and_b32 s3, ttmp6, 15
	s_add_co_i32 s2, s2, 1
	s_getreg_b32 s10, hwreg(HW_REG_IB_STS2, 6, 4)
	s_mul_i32 s2, ttmp9, s2
	s_delay_alu instid0(SALU_CYCLE_1) | instskip(SKIP_2) | instid1(SALU_CYCLE_1)
	s_add_co_i32 s3, s3, s2
	s_cmp_eq_u32 s10, 0
	s_cselect_b32 s2, ttmp9, s3
	v_lshl_or_b32 v8, s2, 10, v0
	s_delay_alu instid0(VALU_DEP_1)
	v_cmp_gt_i64_e32 vcc_lo, s[4:5], v[8:9]
	s_and_b32 exec_lo, exec_lo, vcc_lo
	s_cbranch_execz .LBB15_7
; %bb.2:
	v_cmp_lt_i64_e64 s2, s[8:9], 1
	s_and_b32 vcc_lo, exec_lo, s2
	s_cbranch_vccnz .LBB15_7
; %bb.3:
	s_load_b256 s[12:19], s[0:1], 0x30
	v_lshlrev_b64_e32 v[14:15], 4, v[8:9]
	s_wait_xcnt 0x0
	s_load_b32 s0, s[0:1], 0x0
	s_mov_b32 s21, 0
                                        ; implicit-def: $sgpr11
	s_delay_alu instid0(SALU_CYCLE_1) | instskip(SKIP_1) | instid1(VALU_DEP_1)
	s_mov_b32 s10, s21
	s_wait_kmcnt 0x0
	v_add_nc_u64_e32 v[0:1], s[16:17], v[14:15]
	s_cmp_eq_u32 s0, 0x71
	s_cselect_b32 vcc_lo, -1, 0
	s_lshl_b64 s[2:3], s[4:5], 3
	s_lshl_b64 s[4:5], s[4:5], 4
	global_load_b128 v[10:13], v[0:1], off
	s_wait_loadcnt 0x0
	v_mul_f64_e64 v[0:1], v[12:13], -v[4:5]
	v_mul_f64_e32 v[6:7], v[2:3], v[12:13]
	s_delay_alu instid0(VALU_DEP_2) | instskip(NEXT) | instid1(VALU_DEP_2)
	v_fmac_f64_e32 v[0:1], v[2:3], v[10:11]
	v_fmac_f64_e32 v[6:7], v[4:5], v[10:11]
	v_add_nc_u64_e32 v[2:3], s[14:15], v[14:15]
	v_lshl_add_u64 v[4:5], v[8:9], 3, s[12:13]
	s_delay_alu instid0(VALU_DEP_2)
	v_add_nc_u64_e32 v[2:3], 8, v[2:3]
	s_branch .LBB15_5
.LBB15_4:                               ;   in Loop: Header=BB15_5 Depth=1
	s_wait_xcnt 0x0
	s_or_b32 exec_lo, exec_lo, s0
	s_delay_alu instid0(SALU_CYCLE_1) | instskip(NEXT) | instid1(SALU_CYCLE_1)
	s_and_b32 s0, exec_lo, s11
	s_or_b32 s10, s0, s10
	s_delay_alu instid0(SALU_CYCLE_1)
	s_and_not1_b32 exec_lo, exec_lo, s10
	s_cbranch_execz .LBB15_7
.LBB15_5:                               ; =>This Inner Loop Header: Depth=1
	global_load_b64 v[8:9], v[4:5], off th:TH_LOAD_NT
	s_or_b32 s11, s11, exec_lo
	s_wait_loadcnt 0x0
	v_sub_nc_u64_e64 v[8:9], v[8:9], s[20:21]
	s_delay_alu instid0(VALU_DEP_1)
	v_cmp_lt_i64_e64 s0, -1, v[8:9]
	v_cmp_gt_i64_e64 s1, s[6:7], v[8:9]
	s_and_b32 s1, s0, s1
	s_wait_xcnt 0x0
	s_and_saveexec_b32 s0, s1
	s_cbranch_execz .LBB15_4
; %bb.6:                                ;   in Loop: Header=BB15_5 Depth=1
	global_load_b128 v[10:13], v[2:3], off offset:-8 th:TH_LOAD_NT
	v_lshl_add_u64 v[8:9], v[8:9], 4, s[18:19]
	s_add_nc_u64 s[8:9], s[8:9], -1
	v_add_nc_u64_e32 v[4:5], s[2:3], v[4:5]
	s_cmp_eq_u64 s[8:9], 0
	s_wait_xcnt 0x0
	v_add_nc_u64_e32 v[2:3], s[4:5], v[2:3]
	s_cselect_b32 s1, -1, 0
	s_and_not1_b32 s11, s11, exec_lo
	s_and_b32 s1, s1, exec_lo
	s_delay_alu instid0(SALU_CYCLE_1) | instskip(SKIP_2) | instid1(VALU_DEP_1)
	s_or_b32 s11, s11, s1
	s_wait_loadcnt 0x0
	v_xor_b32_e32 v14, 0x80000000, v13
	v_cndmask_b32_e32 v13, v13, v14, vcc_lo
	s_delay_alu instid0(VALU_DEP_1) | instskip(SKIP_1) | instid1(VALU_DEP_2)
	v_mul_f64_e64 v[14:15], v[12:13], -v[6:7]
	v_mul_f64_e32 v[12:13], v[0:1], v[12:13]
	v_fmac_f64_e32 v[14:15], v[0:1], v[10:11]
	s_delay_alu instid0(VALU_DEP_2)
	v_fmac_f64_e32 v[12:13], v[6:7], v[10:11]
	global_atomic_add_f64 v[8:9], v[14:15], off scope:SCOPE_DEV
	s_wait_xcnt 0x0
	global_atomic_add_f64 v[8:9], v[12:13], off offset:8 scope:SCOPE_DEV
	s_branch .LBB15_4
.LBB15_7:
	s_endpgm
	.section	.rodata,"a",@progbits
	.p2align	6, 0x0
	.amdhsa_kernel _ZN9rocsparseL13ellmvt_kernelILj1024El21rocsparse_complex_numIdES2_S2_S2_EEv20rocsparse_operation_T0_S4_S4_NS_24const_host_device_scalarIT4_EEPKS4_PKT1_PKT2_PT3_21rocsparse_index_base_b
		.amdhsa_group_segment_fixed_size 0
		.amdhsa_private_segment_fixed_size 0
		.amdhsa_kernarg_size 88
		.amdhsa_user_sgpr_count 2
		.amdhsa_user_sgpr_dispatch_ptr 0
		.amdhsa_user_sgpr_queue_ptr 0
		.amdhsa_user_sgpr_kernarg_segment_ptr 1
		.amdhsa_user_sgpr_dispatch_id 0
		.amdhsa_user_sgpr_kernarg_preload_length 0
		.amdhsa_user_sgpr_kernarg_preload_offset 0
		.amdhsa_user_sgpr_private_segment_size 0
		.amdhsa_wavefront_size32 1
		.amdhsa_uses_dynamic_stack 0
		.amdhsa_enable_private_segment 0
		.amdhsa_system_sgpr_workgroup_id_x 1
		.amdhsa_system_sgpr_workgroup_id_y 0
		.amdhsa_system_sgpr_workgroup_id_z 0
		.amdhsa_system_sgpr_workgroup_info 0
		.amdhsa_system_vgpr_workitem_id 0
		.amdhsa_next_free_vgpr 16
		.amdhsa_next_free_sgpr 22
		.amdhsa_named_barrier_count 0
		.amdhsa_reserve_vcc 1
		.amdhsa_float_round_mode_32 0
		.amdhsa_float_round_mode_16_64 0
		.amdhsa_float_denorm_mode_32 3
		.amdhsa_float_denorm_mode_16_64 3
		.amdhsa_fp16_overflow 0
		.amdhsa_memory_ordered 1
		.amdhsa_forward_progress 1
		.amdhsa_inst_pref_size 5
		.amdhsa_round_robin_scheduling 0
		.amdhsa_exception_fp_ieee_invalid_op 0
		.amdhsa_exception_fp_denorm_src 0
		.amdhsa_exception_fp_ieee_div_zero 0
		.amdhsa_exception_fp_ieee_overflow 0
		.amdhsa_exception_fp_ieee_underflow 0
		.amdhsa_exception_fp_ieee_inexact 0
		.amdhsa_exception_int_div_zero 0
	.end_amdhsa_kernel
	.section	.text._ZN9rocsparseL13ellmvt_kernelILj1024El21rocsparse_complex_numIdES2_S2_S2_EEv20rocsparse_operation_T0_S4_S4_NS_24const_host_device_scalarIT4_EEPKS4_PKT1_PKT2_PT3_21rocsparse_index_base_b,"axG",@progbits,_ZN9rocsparseL13ellmvt_kernelILj1024El21rocsparse_complex_numIdES2_S2_S2_EEv20rocsparse_operation_T0_S4_S4_NS_24const_host_device_scalarIT4_EEPKS4_PKT1_PKT2_PT3_21rocsparse_index_base_b,comdat
.Lfunc_end15:
	.size	_ZN9rocsparseL13ellmvt_kernelILj1024El21rocsparse_complex_numIdES2_S2_S2_EEv20rocsparse_operation_T0_S4_S4_NS_24const_host_device_scalarIT4_EEPKS4_PKT1_PKT2_PT3_21rocsparse_index_base_b, .Lfunc_end15-_ZN9rocsparseL13ellmvt_kernelILj1024El21rocsparse_complex_numIdES2_S2_S2_EEv20rocsparse_operation_T0_S4_S4_NS_24const_host_device_scalarIT4_EEPKS4_PKT1_PKT2_PT3_21rocsparse_index_base_b
                                        ; -- End function
	.set _ZN9rocsparseL13ellmvt_kernelILj1024El21rocsparse_complex_numIdES2_S2_S2_EEv20rocsparse_operation_T0_S4_S4_NS_24const_host_device_scalarIT4_EEPKS4_PKT1_PKT2_PT3_21rocsparse_index_base_b.num_vgpr, 16
	.set _ZN9rocsparseL13ellmvt_kernelILj1024El21rocsparse_complex_numIdES2_S2_S2_EEv20rocsparse_operation_T0_S4_S4_NS_24const_host_device_scalarIT4_EEPKS4_PKT1_PKT2_PT3_21rocsparse_index_base_b.num_agpr, 0
	.set _ZN9rocsparseL13ellmvt_kernelILj1024El21rocsparse_complex_numIdES2_S2_S2_EEv20rocsparse_operation_T0_S4_S4_NS_24const_host_device_scalarIT4_EEPKS4_PKT1_PKT2_PT3_21rocsparse_index_base_b.numbered_sgpr, 22
	.set _ZN9rocsparseL13ellmvt_kernelILj1024El21rocsparse_complex_numIdES2_S2_S2_EEv20rocsparse_operation_T0_S4_S4_NS_24const_host_device_scalarIT4_EEPKS4_PKT1_PKT2_PT3_21rocsparse_index_base_b.num_named_barrier, 0
	.set _ZN9rocsparseL13ellmvt_kernelILj1024El21rocsparse_complex_numIdES2_S2_S2_EEv20rocsparse_operation_T0_S4_S4_NS_24const_host_device_scalarIT4_EEPKS4_PKT1_PKT2_PT3_21rocsparse_index_base_b.private_seg_size, 0
	.set _ZN9rocsparseL13ellmvt_kernelILj1024El21rocsparse_complex_numIdES2_S2_S2_EEv20rocsparse_operation_T0_S4_S4_NS_24const_host_device_scalarIT4_EEPKS4_PKT1_PKT2_PT3_21rocsparse_index_base_b.uses_vcc, 1
	.set _ZN9rocsparseL13ellmvt_kernelILj1024El21rocsparse_complex_numIdES2_S2_S2_EEv20rocsparse_operation_T0_S4_S4_NS_24const_host_device_scalarIT4_EEPKS4_PKT1_PKT2_PT3_21rocsparse_index_base_b.uses_flat_scratch, 0
	.set _ZN9rocsparseL13ellmvt_kernelILj1024El21rocsparse_complex_numIdES2_S2_S2_EEv20rocsparse_operation_T0_S4_S4_NS_24const_host_device_scalarIT4_EEPKS4_PKT1_PKT2_PT3_21rocsparse_index_base_b.has_dyn_sized_stack, 0
	.set _ZN9rocsparseL13ellmvt_kernelILj1024El21rocsparse_complex_numIdES2_S2_S2_EEv20rocsparse_operation_T0_S4_S4_NS_24const_host_device_scalarIT4_EEPKS4_PKT1_PKT2_PT3_21rocsparse_index_base_b.has_recursion, 0
	.set _ZN9rocsparseL13ellmvt_kernelILj1024El21rocsparse_complex_numIdES2_S2_S2_EEv20rocsparse_operation_T0_S4_S4_NS_24const_host_device_scalarIT4_EEPKS4_PKT1_PKT2_PT3_21rocsparse_index_base_b.has_indirect_call, 0
	.section	.AMDGPU.csdata,"",@progbits
; Kernel info:
; codeLenInByte = 532
; TotalNumSgprs: 24
; NumVgprs: 16
; ScratchSize: 0
; MemoryBound: 0
; FloatMode: 240
; IeeeMode: 1
; LDSByteSize: 0 bytes/workgroup (compile time only)
; SGPRBlocks: 0
; VGPRBlocks: 0
; NumSGPRsForWavesPerEU: 24
; NumVGPRsForWavesPerEU: 16
; NamedBarCnt: 0
; Occupancy: 16
; WaveLimiterHint : 1
; COMPUTE_PGM_RSRC2:SCRATCH_EN: 0
; COMPUTE_PGM_RSRC2:USER_SGPR: 2
; COMPUTE_PGM_RSRC2:TRAP_HANDLER: 0
; COMPUTE_PGM_RSRC2:TGID_X_EN: 1
; COMPUTE_PGM_RSRC2:TGID_Y_EN: 0
; COMPUTE_PGM_RSRC2:TGID_Z_EN: 0
; COMPUTE_PGM_RSRC2:TIDIG_COMP_CNT: 0
	.section	.text._ZN9rocsparseL13ellmvn_kernelILj512EiaaiiEEvT0_S1_S1_NS_24const_host_device_scalarIT4_EEPKS1_PKT1_PKT2_S4_PT3_21rocsparse_index_base_b,"axG",@progbits,_ZN9rocsparseL13ellmvn_kernelILj512EiaaiiEEvT0_S1_S1_NS_24const_host_device_scalarIT4_EEPKS1_PKT1_PKT2_S4_PT3_21rocsparse_index_base_b,comdat
	.globl	_ZN9rocsparseL13ellmvn_kernelILj512EiaaiiEEvT0_S1_S1_NS_24const_host_device_scalarIT4_EEPKS1_PKT1_PKT2_S4_PT3_21rocsparse_index_base_b ; -- Begin function _ZN9rocsparseL13ellmvn_kernelILj512EiaaiiEEvT0_S1_S1_NS_24const_host_device_scalarIT4_EEPKS1_PKT1_PKT2_S4_PT3_21rocsparse_index_base_b
	.p2align	8
	.type	_ZN9rocsparseL13ellmvn_kernelILj512EiaaiiEEvT0_S1_S1_NS_24const_host_device_scalarIT4_EEPKS1_PKT1_PKT2_S4_PT3_21rocsparse_index_base_b,@function
_ZN9rocsparseL13ellmvn_kernelILj512EiaaiiEEvT0_S1_S1_NS_24const_host_device_scalarIT4_EEPKS1_PKT1_PKT2_S4_PT3_21rocsparse_index_base_b: ; @_ZN9rocsparseL13ellmvn_kernelILj512EiaaiiEEvT0_S1_S1_NS_24const_host_device_scalarIT4_EEPKS1_PKT1_PKT2_S4_PT3_21rocsparse_index_base_b
; %bb.0:
	s_clause 0x1
	s_load_b64 s[2:3], s[0:1], 0x40
	s_load_b64 s[6:7], s[0:1], 0x10
	s_mov_b32 s9, -1
	s_wait_kmcnt 0x0
	s_bitcmp1_b32 s3, 0
	s_cselect_b32 s3, -1, 0
	s_delay_alu instid0(SALU_CYCLE_1) | instskip(NEXT) | instid1(SALU_CYCLE_1)
	s_xor_b32 s8, s3, -1
                                        ; implicit-def: $sgpr3
	s_and_b32 vcc_lo, exec_lo, s8
	s_cbranch_vccnz .LBB16_4
; %bb.1:
	s_load_b64 s[4:5], s[0:1], 0x30
	s_and_not1_b32 vcc_lo, exec_lo, s9
	s_cbranch_vccz .LBB16_5
.LBB16_2:
	s_and_b32 vcc_lo, exec_lo, s8
	s_cbranch_vccz .LBB16_6
.LBB16_3:
	s_wait_kmcnt 0x0
	s_load_b32 s14, s[4:5], 0x0
	s_wait_xcnt 0x0
	s_cbranch_execz .LBB16_7
	s_branch .LBB16_8
.LBB16_4:
	s_load_b32 s3, s[6:7], 0x0
	s_load_b64 s[4:5], s[0:1], 0x30
	s_cbranch_execnz .LBB16_2
.LBB16_5:
	s_wait_kmcnt 0x0
	s_mov_b32 s3, s6
	s_and_b32 vcc_lo, exec_lo, s8
	s_cbranch_vccnz .LBB16_3
.LBB16_6:
	s_wait_kmcnt 0x0
                                        ; implicit-def: $sgpr14
.LBB16_7:
	s_wait_kmcnt 0x0
	s_mov_b32 s14, s4
.LBB16_8:
	s_cmp_lg_u32 s3, 0
	s_cselect_b32 s4, -1, 0
	s_wait_kmcnt 0x0
	s_cmp_lg_u32 s14, 1
	s_cselect_b32 s5, -1, 0
	s_delay_alu instid0(SALU_CYCLE_1) | instskip(NEXT) | instid1(SALU_CYCLE_1)
	s_or_b32 s4, s4, s5
	s_and_not1_b32 vcc_lo, exec_lo, s4
	s_cbranch_vccnz .LBB16_18
; %bb.9:
	s_load_b96 s[4:6], s[0:1], 0x0
	s_bfe_u32 s7, ttmp6, 0x4000c
	s_and_b32 s8, ttmp6, 15
	s_add_co_i32 s7, s7, 1
	s_getreg_b32 s9, hwreg(HW_REG_IB_STS2, 6, 4)
	s_mul_i32 s7, ttmp9, s7
	s_delay_alu instid0(SALU_CYCLE_1) | instskip(SKIP_2) | instid1(SALU_CYCLE_1)
	s_add_co_i32 s8, s8, s7
	s_cmp_eq_u32 s9, 0
	s_cselect_b32 s7, ttmp9, s8
	v_lshl_or_b32 v0, s7, 9, v0
	s_mov_b32 s7, exec_lo
	s_wait_kmcnt 0x0
	s_delay_alu instid0(VALU_DEP_1)
	v_cmpx_gt_i32_e64 s4, v0
	s_cbranch_execz .LBB16_18
; %bb.10:
	s_load_b64 s[8:9], s[0:1], 0x38
	s_cmp_lt_i32 s6, 1
	s_cbranch_scc1 .LBB16_19
; %bb.11:
	s_clause 0x1
	s_load_b128 s[16:19], s[0:1], 0x18
	s_load_b64 s[10:11], s[0:1], 0x28
	s_wait_xcnt 0x0
	s_add_co_i32 s0, s6, -1
	s_delay_alu instid0(SALU_CYCLE_1)
	v_dual_mov_b32 v6, s0 :: v_dual_ashrrev_i32 v1, 31, v0
	s_ashr_i32 s13, s4, 31
	s_mov_b32 s12, s4
	s_mov_b32 s1, 0
	s_lshl_b64 s[6:7], s[12:13], 2
	s_wait_kmcnt 0x0
	v_add_nc_u64_e32 v[4:5], s[18:19], v[0:1]
	v_lshl_add_u64 v[2:3], v[0:1], 2, s[16:17]
	v_mov_b32_e32 v1, 0
	s_branch .LBB16_13
.LBB16_12:                              ;   in Loop: Header=BB16_13 Depth=1
	s_or_b32 exec_lo, exec_lo, s4
	v_sub_co_u32 v6, s4, v6, 1
	v_add_nc_u64_e32 v[2:3], s[6:7], v[2:3]
	v_add_nc_u64_e32 v[4:5], s[12:13], v[4:5]
	s_or_b32 s0, s0, s4
	s_delay_alu instid0(SALU_CYCLE_1) | instskip(NEXT) | instid1(SALU_CYCLE_1)
	s_and_b32 s0, exec_lo, s0
	s_or_b32 s1, s0, s1
	s_delay_alu instid0(SALU_CYCLE_1)
	s_and_not1_b32 exec_lo, exec_lo, s1
	s_cbranch_execz .LBB16_15
.LBB16_13:                              ; =>This Inner Loop Header: Depth=1
	global_load_b32 v7, v[2:3], off th:TH_LOAD_NT
	s_wait_loadcnt 0x0
	v_subrev_nc_u32_e32 v7, s2, v7
	s_delay_alu instid0(VALU_DEP_1) | instskip(SKIP_2) | instid1(SALU_CYCLE_1)
	v_cmp_gt_i32_e32 vcc_lo, 0, v7
	v_cmp_le_i32_e64 s0, s5, v7
	s_or_b32 s0, vcc_lo, s0
	s_xor_b32 s15, s0, -1
	s_delay_alu instid0(SALU_CYCLE_1)
	s_and_saveexec_b32 s4, s15
	s_cbranch_execz .LBB16_12
; %bb.14:                               ;   in Loop: Header=BB16_13 Depth=1
	global_load_i8 v8, v[4:5], off th:TH_LOAD_NT
	global_load_i8 v9, v7, s[10:11]
	s_wait_loadcnt 0x0
	v_mad_i32_i24 v1, v9, v8, v1
	s_branch .LBB16_12
.LBB16_15:
	s_or_b32 exec_lo, exec_lo, s1
	v_mul_lo_u32 v1, v1, s3
	s_cmp_eq_u32 s14, 0
	s_mov_b32 s0, 0
	s_cbranch_scc1 .LBB16_20
.LBB16_16:
	s_wait_kmcnt 0x0
	global_load_b32 v2, v0, s[8:9] scale_offset th:TH_LOAD_NT
	s_wait_loadcnt 0x0
	v_mad_u32 v2, v2, s14, v1
	global_store_b32 v0, v2, s[8:9] scale_offset th:TH_STORE_NT
	s_and_not1_b32 vcc_lo, exec_lo, s0
	s_cbranch_vccnz .LBB16_18
.LBB16_17:
	s_wait_kmcnt 0x0
	global_store_b32 v0, v1, s[8:9] scale_offset th:TH_STORE_NT
.LBB16_18:
	s_endpgm
.LBB16_19:
	v_mov_b32_e32 v1, 0
	s_delay_alu instid0(VALU_DEP_1)
	v_mul_lo_u32 v1, v1, s3
	s_cmp_eq_u32 s14, 0
	s_wait_xcnt 0x0
	s_mov_b32 s0, 0
	s_cbranch_scc0 .LBB16_16
.LBB16_20:
	s_branch .LBB16_17
	.section	.rodata,"a",@progbits
	.p2align	6, 0x0
	.amdhsa_kernel _ZN9rocsparseL13ellmvn_kernelILj512EiaaiiEEvT0_S1_S1_NS_24const_host_device_scalarIT4_EEPKS1_PKT1_PKT2_S4_PT3_21rocsparse_index_base_b
		.amdhsa_group_segment_fixed_size 0
		.amdhsa_private_segment_fixed_size 0
		.amdhsa_kernarg_size 72
		.amdhsa_user_sgpr_count 2
		.amdhsa_user_sgpr_dispatch_ptr 0
		.amdhsa_user_sgpr_queue_ptr 0
		.amdhsa_user_sgpr_kernarg_segment_ptr 1
		.amdhsa_user_sgpr_dispatch_id 0
		.amdhsa_user_sgpr_kernarg_preload_length 0
		.amdhsa_user_sgpr_kernarg_preload_offset 0
		.amdhsa_user_sgpr_private_segment_size 0
		.amdhsa_wavefront_size32 1
		.amdhsa_uses_dynamic_stack 0
		.amdhsa_enable_private_segment 0
		.amdhsa_system_sgpr_workgroup_id_x 1
		.amdhsa_system_sgpr_workgroup_id_y 0
		.amdhsa_system_sgpr_workgroup_id_z 0
		.amdhsa_system_sgpr_workgroup_info 0
		.amdhsa_system_vgpr_workitem_id 0
		.amdhsa_next_free_vgpr 10
		.amdhsa_next_free_sgpr 20
		.amdhsa_named_barrier_count 0
		.amdhsa_reserve_vcc 1
		.amdhsa_float_round_mode_32 0
		.amdhsa_float_round_mode_16_64 0
		.amdhsa_float_denorm_mode_32 3
		.amdhsa_float_denorm_mode_16_64 3
		.amdhsa_fp16_overflow 0
		.amdhsa_memory_ordered 1
		.amdhsa_forward_progress 1
		.amdhsa_inst_pref_size 5
		.amdhsa_round_robin_scheduling 0
		.amdhsa_exception_fp_ieee_invalid_op 0
		.amdhsa_exception_fp_denorm_src 0
		.amdhsa_exception_fp_ieee_div_zero 0
		.amdhsa_exception_fp_ieee_overflow 0
		.amdhsa_exception_fp_ieee_underflow 0
		.amdhsa_exception_fp_ieee_inexact 0
		.amdhsa_exception_int_div_zero 0
	.end_amdhsa_kernel
	.section	.text._ZN9rocsparseL13ellmvn_kernelILj512EiaaiiEEvT0_S1_S1_NS_24const_host_device_scalarIT4_EEPKS1_PKT1_PKT2_S4_PT3_21rocsparse_index_base_b,"axG",@progbits,_ZN9rocsparseL13ellmvn_kernelILj512EiaaiiEEvT0_S1_S1_NS_24const_host_device_scalarIT4_EEPKS1_PKT1_PKT2_S4_PT3_21rocsparse_index_base_b,comdat
.Lfunc_end16:
	.size	_ZN9rocsparseL13ellmvn_kernelILj512EiaaiiEEvT0_S1_S1_NS_24const_host_device_scalarIT4_EEPKS1_PKT1_PKT2_S4_PT3_21rocsparse_index_base_b, .Lfunc_end16-_ZN9rocsparseL13ellmvn_kernelILj512EiaaiiEEvT0_S1_S1_NS_24const_host_device_scalarIT4_EEPKS1_PKT1_PKT2_S4_PT3_21rocsparse_index_base_b
                                        ; -- End function
	.set _ZN9rocsparseL13ellmvn_kernelILj512EiaaiiEEvT0_S1_S1_NS_24const_host_device_scalarIT4_EEPKS1_PKT1_PKT2_S4_PT3_21rocsparse_index_base_b.num_vgpr, 10
	.set _ZN9rocsparseL13ellmvn_kernelILj512EiaaiiEEvT0_S1_S1_NS_24const_host_device_scalarIT4_EEPKS1_PKT1_PKT2_S4_PT3_21rocsparse_index_base_b.num_agpr, 0
	.set _ZN9rocsparseL13ellmvn_kernelILj512EiaaiiEEvT0_S1_S1_NS_24const_host_device_scalarIT4_EEPKS1_PKT1_PKT2_S4_PT3_21rocsparse_index_base_b.numbered_sgpr, 20
	.set _ZN9rocsparseL13ellmvn_kernelILj512EiaaiiEEvT0_S1_S1_NS_24const_host_device_scalarIT4_EEPKS1_PKT1_PKT2_S4_PT3_21rocsparse_index_base_b.num_named_barrier, 0
	.set _ZN9rocsparseL13ellmvn_kernelILj512EiaaiiEEvT0_S1_S1_NS_24const_host_device_scalarIT4_EEPKS1_PKT1_PKT2_S4_PT3_21rocsparse_index_base_b.private_seg_size, 0
	.set _ZN9rocsparseL13ellmvn_kernelILj512EiaaiiEEvT0_S1_S1_NS_24const_host_device_scalarIT4_EEPKS1_PKT1_PKT2_S4_PT3_21rocsparse_index_base_b.uses_vcc, 1
	.set _ZN9rocsparseL13ellmvn_kernelILj512EiaaiiEEvT0_S1_S1_NS_24const_host_device_scalarIT4_EEPKS1_PKT1_PKT2_S4_PT3_21rocsparse_index_base_b.uses_flat_scratch, 0
	.set _ZN9rocsparseL13ellmvn_kernelILj512EiaaiiEEvT0_S1_S1_NS_24const_host_device_scalarIT4_EEPKS1_PKT1_PKT2_S4_PT3_21rocsparse_index_base_b.has_dyn_sized_stack, 0
	.set _ZN9rocsparseL13ellmvn_kernelILj512EiaaiiEEvT0_S1_S1_NS_24const_host_device_scalarIT4_EEPKS1_PKT1_PKT2_S4_PT3_21rocsparse_index_base_b.has_recursion, 0
	.set _ZN9rocsparseL13ellmvn_kernelILj512EiaaiiEEvT0_S1_S1_NS_24const_host_device_scalarIT4_EEPKS1_PKT1_PKT2_S4_PT3_21rocsparse_index_base_b.has_indirect_call, 0
	.section	.AMDGPU.csdata,"",@progbits
; Kernel info:
; codeLenInByte = 632
; TotalNumSgprs: 22
; NumVgprs: 10
; ScratchSize: 0
; MemoryBound: 0
; FloatMode: 240
; IeeeMode: 1
; LDSByteSize: 0 bytes/workgroup (compile time only)
; SGPRBlocks: 0
; VGPRBlocks: 0
; NumSGPRsForWavesPerEU: 22
; NumVGPRsForWavesPerEU: 10
; NamedBarCnt: 0
; Occupancy: 16
; WaveLimiterHint : 1
; COMPUTE_PGM_RSRC2:SCRATCH_EN: 0
; COMPUTE_PGM_RSRC2:USER_SGPR: 2
; COMPUTE_PGM_RSRC2:TRAP_HANDLER: 0
; COMPUTE_PGM_RSRC2:TGID_X_EN: 1
; COMPUTE_PGM_RSRC2:TGID_Y_EN: 0
; COMPUTE_PGM_RSRC2:TGID_Z_EN: 0
; COMPUTE_PGM_RSRC2:TIDIG_COMP_CNT: 0
	.section	.text._ZN9rocsparseL13ellmvt_kernelILj1024EiaaiiEEv20rocsparse_operation_T0_S2_S2_NS_24const_host_device_scalarIT4_EEPKS2_PKT1_PKT2_PT3_21rocsparse_index_base_b,"axG",@progbits,_ZN9rocsparseL13ellmvt_kernelILj1024EiaaiiEEv20rocsparse_operation_T0_S2_S2_NS_24const_host_device_scalarIT4_EEPKS2_PKT1_PKT2_PT3_21rocsparse_index_base_b,comdat
	.globl	_ZN9rocsparseL13ellmvt_kernelILj1024EiaaiiEEv20rocsparse_operation_T0_S2_S2_NS_24const_host_device_scalarIT4_EEPKS2_PKT1_PKT2_PT3_21rocsparse_index_base_b ; -- Begin function _ZN9rocsparseL13ellmvt_kernelILj1024EiaaiiEEv20rocsparse_operation_T0_S2_S2_NS_24const_host_device_scalarIT4_EEPKS2_PKT1_PKT2_PT3_21rocsparse_index_base_b
	.p2align	8
	.type	_ZN9rocsparseL13ellmvt_kernelILj1024EiaaiiEEv20rocsparse_operation_T0_S2_S2_NS_24const_host_device_scalarIT4_EEPKS2_PKT1_PKT2_PT3_21rocsparse_index_base_b,@function
_ZN9rocsparseL13ellmvt_kernelILj1024EiaaiiEEv20rocsparse_operation_T0_S2_S2_NS_24const_host_device_scalarIT4_EEPKS2_PKT1_PKT2_PT3_21rocsparse_index_base_b: ; @_ZN9rocsparseL13ellmvt_kernelILj1024EiaaiiEEv20rocsparse_operation_T0_S2_S2_NS_24const_host_device_scalarIT4_EEPKS2_PKT1_PKT2_PT3_21rocsparse_index_base_b
; %bb.0:
	s_clause 0x1
	s_load_b64 s[2:3], s[0:1], 0x38
	s_load_b64 s[4:5], s[0:1], 0x10
	s_mov_b32 s6, 0
	s_wait_kmcnt 0x0
	s_bitcmp0_b32 s3, 0
	s_cbranch_scc0 .LBB17_2
; %bb.1:
	s_load_b32 s3, s[4:5], 0x0
	s_and_not1_b32 vcc_lo, exec_lo, s6
	s_cbranch_vccz .LBB17_3
	s_branch .LBB17_4
.LBB17_2:
                                        ; implicit-def: $sgpr3
.LBB17_3:
	s_wait_kmcnt 0x0
	s_mov_b32 s3, s4
.LBB17_4:
	s_wait_kmcnt 0x0
	s_cmp_eq_u32 s3, 0
	s_cbranch_scc1 .LBB17_11
; %bb.5:
	s_load_b96 s[12:14], s[0:1], 0x4
	s_bfe_u32 s4, ttmp6, 0x4000c
	s_and_b32 s5, ttmp6, 15
	s_add_co_i32 s4, s4, 1
	s_getreg_b32 s6, hwreg(HW_REG_IB_STS2, 6, 4)
	s_mul_i32 s4, ttmp9, s4
	s_delay_alu instid0(SALU_CYCLE_1) | instskip(SKIP_2) | instid1(SALU_CYCLE_1)
	s_add_co_i32 s5, s5, s4
	s_cmp_eq_u32 s6, 0
	s_cselect_b32 s4, ttmp9, s5
	v_lshl_or_b32 v2, s4, 10, v0
	s_mov_b32 s4, exec_lo
	s_wait_kmcnt 0x0
	s_delay_alu instid0(VALU_DEP_1)
	v_cmpx_gt_i32_e64 s12, v2
	s_cbranch_execz .LBB17_11
; %bb.6:
	s_cmp_lt_i32 s14, 1
	s_cbranch_scc1 .LBB17_11
; %bb.7:
	s_load_b256 s[4:11], s[0:1], 0x18
	v_ashrrev_i32_e32 v3, 31, v2
	s_wait_xcnt 0x0
	s_mov_b32 s1, 0
	s_wait_kmcnt 0x0
	global_load_i8 v0, v2, s[8:9]
	s_wait_xcnt 0x0
	s_ashr_i32 s9, s12, 31
	s_mov_b32 s8, s12
	s_wait_loadcnt 0x0
	v_mul_lo_u32 v4, s3, v0
	v_add_nc_u64_e32 v[0:1], s[6:7], v[2:3]
	v_lshl_add_u64 v[2:3], v[2:3], 2, s[4:5]
	s_lshl_b64 s[4:5], s[8:9], 2
                                        ; implicit-def: $sgpr3
	s_branch .LBB17_9
.LBB17_8:                               ;   in Loop: Header=BB17_9 Depth=1
	s_wait_xcnt 0x0
	s_or_b32 exec_lo, exec_lo, s0
	s_delay_alu instid0(SALU_CYCLE_1) | instskip(NEXT) | instid1(SALU_CYCLE_1)
	s_and_b32 s0, exec_lo, s3
	s_or_b32 s1, s0, s1
	s_delay_alu instid0(SALU_CYCLE_1)
	s_and_not1_b32 exec_lo, exec_lo, s1
	s_cbranch_execz .LBB17_11
.LBB17_9:                               ; =>This Inner Loop Header: Depth=1
	global_load_b32 v5, v[2:3], off th:TH_LOAD_NT
	s_or_b32 s3, s3, exec_lo
	s_wait_loadcnt 0x0
	v_subrev_nc_u32_e32 v5, s2, v5
	s_delay_alu instid0(VALU_DEP_1)
	v_cmp_lt_i32_e32 vcc_lo, -1, v5
	v_cmp_gt_i32_e64 s0, s13, v5
	s_and_b32 s6, vcc_lo, s0
	s_wait_xcnt 0x0
	s_and_saveexec_b32 s0, s6
	s_cbranch_execz .LBB17_8
; %bb.10:                               ;   in Loop: Header=BB17_9 Depth=1
	global_load_i8 v6, v[0:1], off th:TH_LOAD_NT
	s_add_co_i32 s14, s14, -1
	v_add_nc_u64_e32 v[2:3], s[4:5], v[2:3]
	s_cmp_eq_u32 s14, 0
	s_wait_xcnt 0x0
	v_add_nc_u64_e32 v[0:1], s[8:9], v[0:1]
	s_cselect_b32 s6, -1, 0
	s_and_not1_b32 s3, s3, exec_lo
	s_and_b32 s6, s6, exec_lo
	s_delay_alu instid0(SALU_CYCLE_1)
	s_or_b32 s3, s3, s6
	s_wait_loadcnt 0x0
	v_mul_lo_u32 v6, v4, v6
	global_atomic_add_u32 v5, v6, s[10:11] scale_offset scope:SCOPE_DEV
	s_branch .LBB17_8
.LBB17_11:
	s_endpgm
	.section	.rodata,"a",@progbits
	.p2align	6, 0x0
	.amdhsa_kernel _ZN9rocsparseL13ellmvt_kernelILj1024EiaaiiEEv20rocsparse_operation_T0_S2_S2_NS_24const_host_device_scalarIT4_EEPKS2_PKT1_PKT2_PT3_21rocsparse_index_base_b
		.amdhsa_group_segment_fixed_size 0
		.amdhsa_private_segment_fixed_size 0
		.amdhsa_kernarg_size 64
		.amdhsa_user_sgpr_count 2
		.amdhsa_user_sgpr_dispatch_ptr 0
		.amdhsa_user_sgpr_queue_ptr 0
		.amdhsa_user_sgpr_kernarg_segment_ptr 1
		.amdhsa_user_sgpr_dispatch_id 0
		.amdhsa_user_sgpr_kernarg_preload_length 0
		.amdhsa_user_sgpr_kernarg_preload_offset 0
		.amdhsa_user_sgpr_private_segment_size 0
		.amdhsa_wavefront_size32 1
		.amdhsa_uses_dynamic_stack 0
		.amdhsa_enable_private_segment 0
		.amdhsa_system_sgpr_workgroup_id_x 1
		.amdhsa_system_sgpr_workgroup_id_y 0
		.amdhsa_system_sgpr_workgroup_id_z 0
		.amdhsa_system_sgpr_workgroup_info 0
		.amdhsa_system_vgpr_workitem_id 0
		.amdhsa_next_free_vgpr 7
		.amdhsa_next_free_sgpr 15
		.amdhsa_named_barrier_count 0
		.amdhsa_reserve_vcc 1
		.amdhsa_float_round_mode_32 0
		.amdhsa_float_round_mode_16_64 0
		.amdhsa_float_denorm_mode_32 3
		.amdhsa_float_denorm_mode_16_64 3
		.amdhsa_fp16_overflow 0
		.amdhsa_memory_ordered 1
		.amdhsa_forward_progress 1
		.amdhsa_inst_pref_size 4
		.amdhsa_round_robin_scheduling 0
		.amdhsa_exception_fp_ieee_invalid_op 0
		.amdhsa_exception_fp_denorm_src 0
		.amdhsa_exception_fp_ieee_div_zero 0
		.amdhsa_exception_fp_ieee_overflow 0
		.amdhsa_exception_fp_ieee_underflow 0
		.amdhsa_exception_fp_ieee_inexact 0
		.amdhsa_exception_int_div_zero 0
	.end_amdhsa_kernel
	.section	.text._ZN9rocsparseL13ellmvt_kernelILj1024EiaaiiEEv20rocsparse_operation_T0_S2_S2_NS_24const_host_device_scalarIT4_EEPKS2_PKT1_PKT2_PT3_21rocsparse_index_base_b,"axG",@progbits,_ZN9rocsparseL13ellmvt_kernelILj1024EiaaiiEEv20rocsparse_operation_T0_S2_S2_NS_24const_host_device_scalarIT4_EEPKS2_PKT1_PKT2_PT3_21rocsparse_index_base_b,comdat
.Lfunc_end17:
	.size	_ZN9rocsparseL13ellmvt_kernelILj1024EiaaiiEEv20rocsparse_operation_T0_S2_S2_NS_24const_host_device_scalarIT4_EEPKS2_PKT1_PKT2_PT3_21rocsparse_index_base_b, .Lfunc_end17-_ZN9rocsparseL13ellmvt_kernelILj1024EiaaiiEEv20rocsparse_operation_T0_S2_S2_NS_24const_host_device_scalarIT4_EEPKS2_PKT1_PKT2_PT3_21rocsparse_index_base_b
                                        ; -- End function
	.set _ZN9rocsparseL13ellmvt_kernelILj1024EiaaiiEEv20rocsparse_operation_T0_S2_S2_NS_24const_host_device_scalarIT4_EEPKS2_PKT1_PKT2_PT3_21rocsparse_index_base_b.num_vgpr, 7
	.set _ZN9rocsparseL13ellmvt_kernelILj1024EiaaiiEEv20rocsparse_operation_T0_S2_S2_NS_24const_host_device_scalarIT4_EEPKS2_PKT1_PKT2_PT3_21rocsparse_index_base_b.num_agpr, 0
	.set _ZN9rocsparseL13ellmvt_kernelILj1024EiaaiiEEv20rocsparse_operation_T0_S2_S2_NS_24const_host_device_scalarIT4_EEPKS2_PKT1_PKT2_PT3_21rocsparse_index_base_b.numbered_sgpr, 15
	.set _ZN9rocsparseL13ellmvt_kernelILj1024EiaaiiEEv20rocsparse_operation_T0_S2_S2_NS_24const_host_device_scalarIT4_EEPKS2_PKT1_PKT2_PT3_21rocsparse_index_base_b.num_named_barrier, 0
	.set _ZN9rocsparseL13ellmvt_kernelILj1024EiaaiiEEv20rocsparse_operation_T0_S2_S2_NS_24const_host_device_scalarIT4_EEPKS2_PKT1_PKT2_PT3_21rocsparse_index_base_b.private_seg_size, 0
	.set _ZN9rocsparseL13ellmvt_kernelILj1024EiaaiiEEv20rocsparse_operation_T0_S2_S2_NS_24const_host_device_scalarIT4_EEPKS2_PKT1_PKT2_PT3_21rocsparse_index_base_b.uses_vcc, 1
	.set _ZN9rocsparseL13ellmvt_kernelILj1024EiaaiiEEv20rocsparse_operation_T0_S2_S2_NS_24const_host_device_scalarIT4_EEPKS2_PKT1_PKT2_PT3_21rocsparse_index_base_b.uses_flat_scratch, 0
	.set _ZN9rocsparseL13ellmvt_kernelILj1024EiaaiiEEv20rocsparse_operation_T0_S2_S2_NS_24const_host_device_scalarIT4_EEPKS2_PKT1_PKT2_PT3_21rocsparse_index_base_b.has_dyn_sized_stack, 0
	.set _ZN9rocsparseL13ellmvt_kernelILj1024EiaaiiEEv20rocsparse_operation_T0_S2_S2_NS_24const_host_device_scalarIT4_EEPKS2_PKT1_PKT2_PT3_21rocsparse_index_base_b.has_recursion, 0
	.set _ZN9rocsparseL13ellmvt_kernelILj1024EiaaiiEEv20rocsparse_operation_T0_S2_S2_NS_24const_host_device_scalarIT4_EEPKS2_PKT1_PKT2_PT3_21rocsparse_index_base_b.has_indirect_call, 0
	.section	.AMDGPU.csdata,"",@progbits
; Kernel info:
; codeLenInByte = 416
; TotalNumSgprs: 17
; NumVgprs: 7
; ScratchSize: 0
; MemoryBound: 0
; FloatMode: 240
; IeeeMode: 1
; LDSByteSize: 0 bytes/workgroup (compile time only)
; SGPRBlocks: 0
; VGPRBlocks: 0
; NumSGPRsForWavesPerEU: 17
; NumVGPRsForWavesPerEU: 7
; NamedBarCnt: 0
; Occupancy: 16
; WaveLimiterHint : 1
; COMPUTE_PGM_RSRC2:SCRATCH_EN: 0
; COMPUTE_PGM_RSRC2:USER_SGPR: 2
; COMPUTE_PGM_RSRC2:TRAP_HANDLER: 0
; COMPUTE_PGM_RSRC2:TGID_X_EN: 1
; COMPUTE_PGM_RSRC2:TGID_Y_EN: 0
; COMPUTE_PGM_RSRC2:TGID_Z_EN: 0
; COMPUTE_PGM_RSRC2:TIDIG_COMP_CNT: 0
	.section	.text._ZN9rocsparseL13ellmvn_kernelILj512ElaaiiEEvT0_S1_S1_NS_24const_host_device_scalarIT4_EEPKS1_PKT1_PKT2_S4_PT3_21rocsparse_index_base_b,"axG",@progbits,_ZN9rocsparseL13ellmvn_kernelILj512ElaaiiEEvT0_S1_S1_NS_24const_host_device_scalarIT4_EEPKS1_PKT1_PKT2_S4_PT3_21rocsparse_index_base_b,comdat
	.globl	_ZN9rocsparseL13ellmvn_kernelILj512ElaaiiEEvT0_S1_S1_NS_24const_host_device_scalarIT4_EEPKS1_PKT1_PKT2_S4_PT3_21rocsparse_index_base_b ; -- Begin function _ZN9rocsparseL13ellmvn_kernelILj512ElaaiiEEvT0_S1_S1_NS_24const_host_device_scalarIT4_EEPKS1_PKT1_PKT2_S4_PT3_21rocsparse_index_base_b
	.p2align	8
	.type	_ZN9rocsparseL13ellmvn_kernelILj512ElaaiiEEvT0_S1_S1_NS_24const_host_device_scalarIT4_EEPKS1_PKT1_PKT2_S4_PT3_21rocsparse_index_base_b,@function
_ZN9rocsparseL13ellmvn_kernelILj512ElaaiiEEvT0_S1_S1_NS_24const_host_device_scalarIT4_EEPKS1_PKT1_PKT2_S4_PT3_21rocsparse_index_base_b: ; @_ZN9rocsparseL13ellmvn_kernelILj512ElaaiiEEvT0_S1_S1_NS_24const_host_device_scalarIT4_EEPKS1_PKT1_PKT2_S4_PT3_21rocsparse_index_base_b
; %bb.0:
	s_clause 0x1
	s_load_b64 s[12:13], s[0:1], 0x48
	s_load_b256 s[4:11], s[0:1], 0x0
	s_mov_b32 s14, -1
                                        ; implicit-def: $sgpr16
	s_wait_kmcnt 0x0
	s_bitcmp1_b32 s13, 0
	s_cselect_b32 s2, -1, 0
	s_delay_alu instid0(SALU_CYCLE_1) | instskip(NEXT) | instid1(SALU_CYCLE_1)
	s_xor_b32 s13, s2, -1
	s_and_b32 vcc_lo, exec_lo, s13
	s_cbranch_vccnz .LBB18_4
; %bb.1:
	s_load_b64 s[2:3], s[0:1], 0x38
	s_and_not1_b32 vcc_lo, exec_lo, s14
	s_cbranch_vccz .LBB18_5
.LBB18_2:
	s_and_b32 vcc_lo, exec_lo, s13
	s_cbranch_vccz .LBB18_6
.LBB18_3:
	s_wait_kmcnt 0x0
	s_load_b32 s3, s[2:3], 0x0
	s_cbranch_execz .LBB18_7
	s_branch .LBB18_8
.LBB18_4:
	s_load_b32 s16, s[10:11], 0x0
	s_load_b64 s[2:3], s[0:1], 0x38
	s_cbranch_execnz .LBB18_2
.LBB18_5:
	s_wait_kmcnt 0x0
	s_mov_b32 s16, s10
	s_and_b32 vcc_lo, exec_lo, s13
	s_cbranch_vccnz .LBB18_3
.LBB18_6:
	s_wait_xcnt 0x0
                                        ; implicit-def: $sgpr3
.LBB18_7:
	s_wait_kmcnt 0x0
	s_mov_b32 s3, s2
.LBB18_8:
	s_wait_kmcnt 0x0
	s_cmp_lg_u32 s16, 0
	s_cselect_b32 s2, -1, 0
	s_cmp_lg_u32 s3, 1
	s_cselect_b32 s10, -1, 0
	s_delay_alu instid0(SALU_CYCLE_1) | instskip(NEXT) | instid1(SALU_CYCLE_1)
	s_or_b32 s2, s2, s10
	s_and_not1_b32 vcc_lo, exec_lo, s2
	s_cbranch_vccnz .LBB18_19
; %bb.9:
	s_bfe_u32 s2, ttmp6, 0x4000c
	s_and_b32 s10, ttmp6, 15
	s_add_co_i32 s2, s2, 1
	s_getreg_b32 s11, hwreg(HW_REG_IB_STS2, 6, 4)
	s_mul_i32 s2, ttmp9, s2
	v_mov_b32_e32 v1, 0
	s_add_co_i32 s10, s10, s2
	s_cmp_eq_u32 s11, 0
	s_cselect_b32 s2, ttmp9, s10
	s_delay_alu instid0(SALU_CYCLE_1) | instskip(SKIP_1) | instid1(VALU_DEP_1)
	v_lshl_or_b32 v0, s2, 9, v0
	s_mov_b32 s2, exec_lo
	v_cmpx_gt_i64_e64 s[4:5], v[0:1]
	s_cbranch_execz .LBB18_19
; %bb.10:
	v_cmp_lt_i64_e64 s2, s[8:9], 1
	v_mov_b32_e32 v8, v1
	s_and_b32 vcc_lo, exec_lo, s2
	s_cbranch_vccnz .LBB18_16
; %bb.11:
	s_clause 0x1
	s_load_b128 s[20:23], s[0:1], 0x20
	s_load_b64 s[10:11], s[0:1], 0x30
	v_mov_b32_e32 v8, 0
	s_mov_b32 s13, 0
	s_add_nc_u64 s[8:9], s[8:9], -1
	s_lshl_b64 s[14:15], s[4:5], 3
	s_mov_b32 s17, s13
	s_wait_kmcnt 0x0
	v_add_nc_u64_e32 v[2:3], s[22:23], v[0:1]
	v_lshl_add_u64 v[4:5], v[0:1], 3, s[20:21]
	s_branch .LBB18_13
.LBB18_12:                              ;   in Loop: Header=BB18_13 Depth=1
	s_or_b32 exec_lo, exec_lo, s18
	s_cmp_eq_u64 s[8:9], 0
	v_add_nc_u64_e32 v[4:5], s[14:15], v[4:5]
	s_cselect_b32 s18, -1, 0
	v_add_nc_u64_e32 v[2:3], s[4:5], v[2:3]
	s_or_b32 s2, s2, s18
	s_add_nc_u64 s[8:9], s[8:9], -1
	s_and_b32 s2, exec_lo, s2
	s_delay_alu instid0(SALU_CYCLE_1) | instskip(NEXT) | instid1(SALU_CYCLE_1)
	s_or_b32 s17, s2, s17
	s_and_not1_b32 exec_lo, exec_lo, s17
	s_cbranch_execz .LBB18_15
.LBB18_13:                              ; =>This Inner Loop Header: Depth=1
	global_load_b64 v[6:7], v[4:5], off th:TH_LOAD_NT
	s_wait_loadcnt 0x0
	v_sub_nc_u64_e64 v[6:7], v[6:7], s[12:13]
	s_delay_alu instid0(VALU_DEP_1) | instskip(SKIP_2) | instid1(SALU_CYCLE_1)
	v_cmp_gt_i64_e32 vcc_lo, 0, v[6:7]
	v_cmp_le_i64_e64 s2, s[6:7], v[6:7]
	s_or_b32 s2, vcc_lo, s2
	s_xor_b32 s19, s2, -1
	s_delay_alu instid0(SALU_CYCLE_1)
	s_and_saveexec_b32 s18, s19
	s_cbranch_execz .LBB18_12
; %bb.14:                               ;   in Loop: Header=BB18_13 Depth=1
	v_add_nc_u64_e32 v[6:7], s[10:11], v[6:7]
	global_load_i8 v9, v[2:3], off th:TH_LOAD_NT
	global_load_i8 v10, v[6:7], off
	s_wait_loadcnt 0x0
	v_mad_i32_i24 v8, v10, v9, v8
	s_branch .LBB18_12
.LBB18_15:
	s_or_b32 exec_lo, exec_lo, s17
.LBB18_16:
	s_load_b64 s[0:1], s[0:1], 0x40
	s_delay_alu instid0(VALU_DEP_1)
	v_mul_lo_u32 v2, v8, s16
	s_cmp_eq_u32 s3, 0
	s_wait_kmcnt 0x0
	v_lshl_add_u64 v[0:1], v[0:1], 2, s[0:1]
	s_mov_b32 s0, 0
	s_cbranch_scc1 .LBB18_20
; %bb.17:
	global_load_b32 v3, v[0:1], off th:TH_LOAD_NT
	s_wait_loadcnt 0x0
	v_mad_u32 v3, v3, s3, v2
	global_store_b32 v[0:1], v3, off th:TH_STORE_NT
	s_and_not1_b32 vcc_lo, exec_lo, s0
	s_cbranch_vccnz .LBB18_19
.LBB18_18:
	global_store_b32 v[0:1], v2, off th:TH_STORE_NT
.LBB18_19:
	s_endpgm
.LBB18_20:
	s_branch .LBB18_18
	.section	.rodata,"a",@progbits
	.p2align	6, 0x0
	.amdhsa_kernel _ZN9rocsparseL13ellmvn_kernelILj512ElaaiiEEvT0_S1_S1_NS_24const_host_device_scalarIT4_EEPKS1_PKT1_PKT2_S4_PT3_21rocsparse_index_base_b
		.amdhsa_group_segment_fixed_size 0
		.amdhsa_private_segment_fixed_size 0
		.amdhsa_kernarg_size 80
		.amdhsa_user_sgpr_count 2
		.amdhsa_user_sgpr_dispatch_ptr 0
		.amdhsa_user_sgpr_queue_ptr 0
		.amdhsa_user_sgpr_kernarg_segment_ptr 1
		.amdhsa_user_sgpr_dispatch_id 0
		.amdhsa_user_sgpr_kernarg_preload_length 0
		.amdhsa_user_sgpr_kernarg_preload_offset 0
		.amdhsa_user_sgpr_private_segment_size 0
		.amdhsa_wavefront_size32 1
		.amdhsa_uses_dynamic_stack 0
		.amdhsa_enable_private_segment 0
		.amdhsa_system_sgpr_workgroup_id_x 1
		.amdhsa_system_sgpr_workgroup_id_y 0
		.amdhsa_system_sgpr_workgroup_id_z 0
		.amdhsa_system_sgpr_workgroup_info 0
		.amdhsa_system_vgpr_workitem_id 0
		.amdhsa_next_free_vgpr 11
		.amdhsa_next_free_sgpr 24
		.amdhsa_named_barrier_count 0
		.amdhsa_reserve_vcc 1
		.amdhsa_float_round_mode_32 0
		.amdhsa_float_round_mode_16_64 0
		.amdhsa_float_denorm_mode_32 3
		.amdhsa_float_denorm_mode_16_64 3
		.amdhsa_fp16_overflow 0
		.amdhsa_memory_ordered 1
		.amdhsa_forward_progress 1
		.amdhsa_inst_pref_size 5
		.amdhsa_round_robin_scheduling 0
		.amdhsa_exception_fp_ieee_invalid_op 0
		.amdhsa_exception_fp_denorm_src 0
		.amdhsa_exception_fp_ieee_div_zero 0
		.amdhsa_exception_fp_ieee_overflow 0
		.amdhsa_exception_fp_ieee_underflow 0
		.amdhsa_exception_fp_ieee_inexact 0
		.amdhsa_exception_int_div_zero 0
	.end_amdhsa_kernel
	.section	.text._ZN9rocsparseL13ellmvn_kernelILj512ElaaiiEEvT0_S1_S1_NS_24const_host_device_scalarIT4_EEPKS1_PKT1_PKT2_S4_PT3_21rocsparse_index_base_b,"axG",@progbits,_ZN9rocsparseL13ellmvn_kernelILj512ElaaiiEEvT0_S1_S1_NS_24const_host_device_scalarIT4_EEPKS1_PKT1_PKT2_S4_PT3_21rocsparse_index_base_b,comdat
.Lfunc_end18:
	.size	_ZN9rocsparseL13ellmvn_kernelILj512ElaaiiEEvT0_S1_S1_NS_24const_host_device_scalarIT4_EEPKS1_PKT1_PKT2_S4_PT3_21rocsparse_index_base_b, .Lfunc_end18-_ZN9rocsparseL13ellmvn_kernelILj512ElaaiiEEvT0_S1_S1_NS_24const_host_device_scalarIT4_EEPKS1_PKT1_PKT2_S4_PT3_21rocsparse_index_base_b
                                        ; -- End function
	.set _ZN9rocsparseL13ellmvn_kernelILj512ElaaiiEEvT0_S1_S1_NS_24const_host_device_scalarIT4_EEPKS1_PKT1_PKT2_S4_PT3_21rocsparse_index_base_b.num_vgpr, 11
	.set _ZN9rocsparseL13ellmvn_kernelILj512ElaaiiEEvT0_S1_S1_NS_24const_host_device_scalarIT4_EEPKS1_PKT1_PKT2_S4_PT3_21rocsparse_index_base_b.num_agpr, 0
	.set _ZN9rocsparseL13ellmvn_kernelILj512ElaaiiEEvT0_S1_S1_NS_24const_host_device_scalarIT4_EEPKS1_PKT1_PKT2_S4_PT3_21rocsparse_index_base_b.numbered_sgpr, 24
	.set _ZN9rocsparseL13ellmvn_kernelILj512ElaaiiEEvT0_S1_S1_NS_24const_host_device_scalarIT4_EEPKS1_PKT1_PKT2_S4_PT3_21rocsparse_index_base_b.num_named_barrier, 0
	.set _ZN9rocsparseL13ellmvn_kernelILj512ElaaiiEEvT0_S1_S1_NS_24const_host_device_scalarIT4_EEPKS1_PKT1_PKT2_S4_PT3_21rocsparse_index_base_b.private_seg_size, 0
	.set _ZN9rocsparseL13ellmvn_kernelILj512ElaaiiEEvT0_S1_S1_NS_24const_host_device_scalarIT4_EEPKS1_PKT1_PKT2_S4_PT3_21rocsparse_index_base_b.uses_vcc, 1
	.set _ZN9rocsparseL13ellmvn_kernelILj512ElaaiiEEvT0_S1_S1_NS_24const_host_device_scalarIT4_EEPKS1_PKT1_PKT2_S4_PT3_21rocsparse_index_base_b.uses_flat_scratch, 0
	.set _ZN9rocsparseL13ellmvn_kernelILj512ElaaiiEEvT0_S1_S1_NS_24const_host_device_scalarIT4_EEPKS1_PKT1_PKT2_S4_PT3_21rocsparse_index_base_b.has_dyn_sized_stack, 0
	.set _ZN9rocsparseL13ellmvn_kernelILj512ElaaiiEEvT0_S1_S1_NS_24const_host_device_scalarIT4_EEPKS1_PKT1_PKT2_S4_PT3_21rocsparse_index_base_b.has_recursion, 0
	.set _ZN9rocsparseL13ellmvn_kernelILj512ElaaiiEEvT0_S1_S1_NS_24const_host_device_scalarIT4_EEPKS1_PKT1_PKT2_S4_PT3_21rocsparse_index_base_b.has_indirect_call, 0
	.section	.AMDGPU.csdata,"",@progbits
; Kernel info:
; codeLenInByte = 592
; TotalNumSgprs: 26
; NumVgprs: 11
; ScratchSize: 0
; MemoryBound: 0
; FloatMode: 240
; IeeeMode: 1
; LDSByteSize: 0 bytes/workgroup (compile time only)
; SGPRBlocks: 0
; VGPRBlocks: 0
; NumSGPRsForWavesPerEU: 26
; NumVGPRsForWavesPerEU: 11
; NamedBarCnt: 0
; Occupancy: 16
; WaveLimiterHint : 1
; COMPUTE_PGM_RSRC2:SCRATCH_EN: 0
; COMPUTE_PGM_RSRC2:USER_SGPR: 2
; COMPUTE_PGM_RSRC2:TRAP_HANDLER: 0
; COMPUTE_PGM_RSRC2:TGID_X_EN: 1
; COMPUTE_PGM_RSRC2:TGID_Y_EN: 0
; COMPUTE_PGM_RSRC2:TGID_Z_EN: 0
; COMPUTE_PGM_RSRC2:TIDIG_COMP_CNT: 0
	.section	.text._ZN9rocsparseL13ellmvt_kernelILj1024ElaaiiEEv20rocsparse_operation_T0_S2_S2_NS_24const_host_device_scalarIT4_EEPKS2_PKT1_PKT2_PT3_21rocsparse_index_base_b,"axG",@progbits,_ZN9rocsparseL13ellmvt_kernelILj1024ElaaiiEEv20rocsparse_operation_T0_S2_S2_NS_24const_host_device_scalarIT4_EEPKS2_PKT1_PKT2_PT3_21rocsparse_index_base_b,comdat
	.globl	_ZN9rocsparseL13ellmvt_kernelILj1024ElaaiiEEv20rocsparse_operation_T0_S2_S2_NS_24const_host_device_scalarIT4_EEPKS2_PKT1_PKT2_PT3_21rocsparse_index_base_b ; -- Begin function _ZN9rocsparseL13ellmvt_kernelILj1024ElaaiiEEv20rocsparse_operation_T0_S2_S2_NS_24const_host_device_scalarIT4_EEPKS2_PKT1_PKT2_PT3_21rocsparse_index_base_b
	.p2align	8
	.type	_ZN9rocsparseL13ellmvt_kernelILj1024ElaaiiEEv20rocsparse_operation_T0_S2_S2_NS_24const_host_device_scalarIT4_EEPKS2_PKT1_PKT2_PT3_21rocsparse_index_base_b,@function
_ZN9rocsparseL13ellmvt_kernelILj1024ElaaiiEEv20rocsparse_operation_T0_S2_S2_NS_24const_host_device_scalarIT4_EEPKS2_PKT1_PKT2_PT3_21rocsparse_index_base_b: ; @_ZN9rocsparseL13ellmvt_kernelILj1024ElaaiiEEv20rocsparse_operation_T0_S2_S2_NS_24const_host_device_scalarIT4_EEPKS2_PKT1_PKT2_PT3_21rocsparse_index_base_b
; %bb.0:
	s_clause 0x1
	s_load_b64 s[2:3], s[0:1], 0x48
	s_load_b256 s[4:11], s[0:1], 0x8
	s_mov_b32 s12, 0
	s_wait_kmcnt 0x0
	s_bitcmp0_b32 s3, 0
	s_cbranch_scc0 .LBB19_2
; %bb.1:
	s_load_b32 s3, s[10:11], 0x0
	s_and_not1_b32 vcc_lo, exec_lo, s12
	s_cbranch_vccz .LBB19_3
	s_branch .LBB19_4
.LBB19_2:
                                        ; implicit-def: $sgpr3
.LBB19_3:
	s_wait_kmcnt 0x0
	s_mov_b32 s3, s10
.LBB19_4:
	s_wait_kmcnt 0x0
	s_cmp_eq_u32 s3, 0
	s_cbranch_scc1 .LBB19_11
; %bb.5:
	s_bfe_u32 s10, ttmp6, 0x4000c
	s_and_b32 s11, ttmp6, 15
	s_add_co_i32 s10, s10, 1
	s_getreg_b32 s12, hwreg(HW_REG_IB_STS2, 6, 4)
	s_mul_i32 s10, ttmp9, s10
	v_mov_b32_e32 v3, 0
	s_add_co_i32 s11, s11, s10
	s_cmp_eq_u32 s12, 0
	s_cselect_b32 s10, ttmp9, s11
	s_delay_alu instid0(SALU_CYCLE_1) | instskip(SKIP_1) | instid1(VALU_DEP_1)
	v_lshl_or_b32 v2, s10, 10, v0
	s_mov_b32 s10, exec_lo
	v_cmpx_gt_i64_e64 s[4:5], v[2:3]
	s_cbranch_execz .LBB19_11
; %bb.6:
	v_cmp_lt_i64_e64 s10, s[8:9], 1
	s_and_b32 vcc_lo, exec_lo, s10
	s_cbranch_vccnz .LBB19_11
; %bb.7:
	s_load_b256 s[12:19], s[0:1], 0x28
	s_lshl_b64 s[10:11], s[4:5], 3
	s_wait_kmcnt 0x0
	v_add_nc_u64_e32 v[0:1], s[16:17], v[2:3]
	global_load_i8 v0, v[0:1], off
	s_wait_loadcnt 0x0
	v_mul_lo_u32 v6, s3, v0
	v_add_nc_u64_e32 v[0:1], s[14:15], v[2:3]
	v_lshl_add_u64 v[2:3], v[2:3], 3, s[12:13]
	s_mov_b32 s3, 0
                                        ; implicit-def: $sgpr12
	s_delay_alu instid0(SALU_CYCLE_1)
	s_mov_b32 s1, s3
	s_branch .LBB19_9
.LBB19_8:                               ;   in Loop: Header=BB19_9 Depth=1
	s_wait_xcnt 0x0
	s_or_b32 exec_lo, exec_lo, s0
	s_delay_alu instid0(SALU_CYCLE_1) | instskip(NEXT) | instid1(SALU_CYCLE_1)
	s_and_b32 s0, exec_lo, s12
	s_or_b32 s1, s0, s1
	s_delay_alu instid0(SALU_CYCLE_1)
	s_and_not1_b32 exec_lo, exec_lo, s1
	s_cbranch_execz .LBB19_11
.LBB19_9:                               ; =>This Inner Loop Header: Depth=1
	global_load_b64 v[4:5], v[2:3], off th:TH_LOAD_NT
	s_or_b32 s12, s12, exec_lo
	s_wait_loadcnt 0x0
	v_sub_nc_u64_e64 v[4:5], v[4:5], s[2:3]
	s_delay_alu instid0(VALU_DEP_1)
	v_cmp_lt_i64_e32 vcc_lo, -1, v[4:5]
	v_cmp_gt_i64_e64 s0, s[6:7], v[4:5]
	s_and_b32 s13, vcc_lo, s0
	s_wait_xcnt 0x0
	s_and_saveexec_b32 s0, s13
	s_cbranch_execz .LBB19_8
; %bb.10:                               ;   in Loop: Header=BB19_9 Depth=1
	global_load_i8 v7, v[0:1], off th:TH_LOAD_NT
	v_lshl_add_u64 v[4:5], v[4:5], 2, s[18:19]
	s_add_nc_u64 s[8:9], s[8:9], -1
	v_add_nc_u64_e32 v[2:3], s[10:11], v[2:3]
	s_cmp_eq_u64 s[8:9], 0
	s_wait_xcnt 0x0
	v_add_nc_u64_e32 v[0:1], s[4:5], v[0:1]
	s_cselect_b32 s13, -1, 0
	s_and_not1_b32 s12, s12, exec_lo
	s_and_b32 s13, s13, exec_lo
	s_delay_alu instid0(SALU_CYCLE_1)
	s_or_b32 s12, s12, s13
	s_wait_loadcnt 0x0
	v_mul_lo_u32 v7, v6, v7
	global_atomic_add_u32 v[4:5], v7, off scope:SCOPE_DEV
	s_branch .LBB19_8
.LBB19_11:
	s_endpgm
	.section	.rodata,"a",@progbits
	.p2align	6, 0x0
	.amdhsa_kernel _ZN9rocsparseL13ellmvt_kernelILj1024ElaaiiEEv20rocsparse_operation_T0_S2_S2_NS_24const_host_device_scalarIT4_EEPKS2_PKT1_PKT2_PT3_21rocsparse_index_base_b
		.amdhsa_group_segment_fixed_size 0
		.amdhsa_private_segment_fixed_size 0
		.amdhsa_kernarg_size 80
		.amdhsa_user_sgpr_count 2
		.amdhsa_user_sgpr_dispatch_ptr 0
		.amdhsa_user_sgpr_queue_ptr 0
		.amdhsa_user_sgpr_kernarg_segment_ptr 1
		.amdhsa_user_sgpr_dispatch_id 0
		.amdhsa_user_sgpr_kernarg_preload_length 0
		.amdhsa_user_sgpr_kernarg_preload_offset 0
		.amdhsa_user_sgpr_private_segment_size 0
		.amdhsa_wavefront_size32 1
		.amdhsa_uses_dynamic_stack 0
		.amdhsa_enable_private_segment 0
		.amdhsa_system_sgpr_workgroup_id_x 1
		.amdhsa_system_sgpr_workgroup_id_y 0
		.amdhsa_system_sgpr_workgroup_id_z 0
		.amdhsa_system_sgpr_workgroup_info 0
		.amdhsa_system_vgpr_workitem_id 0
		.amdhsa_next_free_vgpr 8
		.amdhsa_next_free_sgpr 20
		.amdhsa_named_barrier_count 0
		.amdhsa_reserve_vcc 1
		.amdhsa_float_round_mode_32 0
		.amdhsa_float_round_mode_16_64 0
		.amdhsa_float_denorm_mode_32 3
		.amdhsa_float_denorm_mode_16_64 3
		.amdhsa_fp16_overflow 0
		.amdhsa_memory_ordered 1
		.amdhsa_forward_progress 1
		.amdhsa_inst_pref_size 4
		.amdhsa_round_robin_scheduling 0
		.amdhsa_exception_fp_ieee_invalid_op 0
		.amdhsa_exception_fp_denorm_src 0
		.amdhsa_exception_fp_ieee_div_zero 0
		.amdhsa_exception_fp_ieee_overflow 0
		.amdhsa_exception_fp_ieee_underflow 0
		.amdhsa_exception_fp_ieee_inexact 0
		.amdhsa_exception_int_div_zero 0
	.end_amdhsa_kernel
	.section	.text._ZN9rocsparseL13ellmvt_kernelILj1024ElaaiiEEv20rocsparse_operation_T0_S2_S2_NS_24const_host_device_scalarIT4_EEPKS2_PKT1_PKT2_PT3_21rocsparse_index_base_b,"axG",@progbits,_ZN9rocsparseL13ellmvt_kernelILj1024ElaaiiEEv20rocsparse_operation_T0_S2_S2_NS_24const_host_device_scalarIT4_EEPKS2_PKT1_PKT2_PT3_21rocsparse_index_base_b,comdat
.Lfunc_end19:
	.size	_ZN9rocsparseL13ellmvt_kernelILj1024ElaaiiEEv20rocsparse_operation_T0_S2_S2_NS_24const_host_device_scalarIT4_EEPKS2_PKT1_PKT2_PT3_21rocsparse_index_base_b, .Lfunc_end19-_ZN9rocsparseL13ellmvt_kernelILj1024ElaaiiEEv20rocsparse_operation_T0_S2_S2_NS_24const_host_device_scalarIT4_EEPKS2_PKT1_PKT2_PT3_21rocsparse_index_base_b
                                        ; -- End function
	.set _ZN9rocsparseL13ellmvt_kernelILj1024ElaaiiEEv20rocsparse_operation_T0_S2_S2_NS_24const_host_device_scalarIT4_EEPKS2_PKT1_PKT2_PT3_21rocsparse_index_base_b.num_vgpr, 8
	.set _ZN9rocsparseL13ellmvt_kernelILj1024ElaaiiEEv20rocsparse_operation_T0_S2_S2_NS_24const_host_device_scalarIT4_EEPKS2_PKT1_PKT2_PT3_21rocsparse_index_base_b.num_agpr, 0
	.set _ZN9rocsparseL13ellmvt_kernelILj1024ElaaiiEEv20rocsparse_operation_T0_S2_S2_NS_24const_host_device_scalarIT4_EEPKS2_PKT1_PKT2_PT3_21rocsparse_index_base_b.numbered_sgpr, 20
	.set _ZN9rocsparseL13ellmvt_kernelILj1024ElaaiiEEv20rocsparse_operation_T0_S2_S2_NS_24const_host_device_scalarIT4_EEPKS2_PKT1_PKT2_PT3_21rocsparse_index_base_b.num_named_barrier, 0
	.set _ZN9rocsparseL13ellmvt_kernelILj1024ElaaiiEEv20rocsparse_operation_T0_S2_S2_NS_24const_host_device_scalarIT4_EEPKS2_PKT1_PKT2_PT3_21rocsparse_index_base_b.private_seg_size, 0
	.set _ZN9rocsparseL13ellmvt_kernelILj1024ElaaiiEEv20rocsparse_operation_T0_S2_S2_NS_24const_host_device_scalarIT4_EEPKS2_PKT1_PKT2_PT3_21rocsparse_index_base_b.uses_vcc, 1
	.set _ZN9rocsparseL13ellmvt_kernelILj1024ElaaiiEEv20rocsparse_operation_T0_S2_S2_NS_24const_host_device_scalarIT4_EEPKS2_PKT1_PKT2_PT3_21rocsparse_index_base_b.uses_flat_scratch, 0
	.set _ZN9rocsparseL13ellmvt_kernelILj1024ElaaiiEEv20rocsparse_operation_T0_S2_S2_NS_24const_host_device_scalarIT4_EEPKS2_PKT1_PKT2_PT3_21rocsparse_index_base_b.has_dyn_sized_stack, 0
	.set _ZN9rocsparseL13ellmvt_kernelILj1024ElaaiiEEv20rocsparse_operation_T0_S2_S2_NS_24const_host_device_scalarIT4_EEPKS2_PKT1_PKT2_PT3_21rocsparse_index_base_b.has_recursion, 0
	.set _ZN9rocsparseL13ellmvt_kernelILj1024ElaaiiEEv20rocsparse_operation_T0_S2_S2_NS_24const_host_device_scalarIT4_EEPKS2_PKT1_PKT2_PT3_21rocsparse_index_base_b.has_indirect_call, 0
	.section	.AMDGPU.csdata,"",@progbits
; Kernel info:
; codeLenInByte = 416
; TotalNumSgprs: 22
; NumVgprs: 8
; ScratchSize: 0
; MemoryBound: 0
; FloatMode: 240
; IeeeMode: 1
; LDSByteSize: 0 bytes/workgroup (compile time only)
; SGPRBlocks: 0
; VGPRBlocks: 0
; NumSGPRsForWavesPerEU: 22
; NumVGPRsForWavesPerEU: 8
; NamedBarCnt: 0
; Occupancy: 16
; WaveLimiterHint : 1
; COMPUTE_PGM_RSRC2:SCRATCH_EN: 0
; COMPUTE_PGM_RSRC2:USER_SGPR: 2
; COMPUTE_PGM_RSRC2:TRAP_HANDLER: 0
; COMPUTE_PGM_RSRC2:TGID_X_EN: 1
; COMPUTE_PGM_RSRC2:TGID_Y_EN: 0
; COMPUTE_PGM_RSRC2:TGID_Z_EN: 0
; COMPUTE_PGM_RSRC2:TIDIG_COMP_CNT: 0
	.section	.text._ZN9rocsparseL13ellmvn_kernelILj512EiaaffEEvT0_S1_S1_NS_24const_host_device_scalarIT4_EEPKS1_PKT1_PKT2_S4_PT3_21rocsparse_index_base_b,"axG",@progbits,_ZN9rocsparseL13ellmvn_kernelILj512EiaaffEEvT0_S1_S1_NS_24const_host_device_scalarIT4_EEPKS1_PKT1_PKT2_S4_PT3_21rocsparse_index_base_b,comdat
	.globl	_ZN9rocsparseL13ellmvn_kernelILj512EiaaffEEvT0_S1_S1_NS_24const_host_device_scalarIT4_EEPKS1_PKT1_PKT2_S4_PT3_21rocsparse_index_base_b ; -- Begin function _ZN9rocsparseL13ellmvn_kernelILj512EiaaffEEvT0_S1_S1_NS_24const_host_device_scalarIT4_EEPKS1_PKT1_PKT2_S4_PT3_21rocsparse_index_base_b
	.p2align	8
	.type	_ZN9rocsparseL13ellmvn_kernelILj512EiaaffEEvT0_S1_S1_NS_24const_host_device_scalarIT4_EEPKS1_PKT1_PKT2_S4_PT3_21rocsparse_index_base_b,@function
_ZN9rocsparseL13ellmvn_kernelILj512EiaaffEEvT0_S1_S1_NS_24const_host_device_scalarIT4_EEPKS1_PKT1_PKT2_S4_PT3_21rocsparse_index_base_b: ; @_ZN9rocsparseL13ellmvn_kernelILj512EiaaffEEvT0_S1_S1_NS_24const_host_device_scalarIT4_EEPKS1_PKT1_PKT2_S4_PT3_21rocsparse_index_base_b
; %bb.0:
	s_clause 0x2
	s_load_b64 s[10:11], s[0:1], 0x40
	s_load_b64 s[8:9], s[0:1], 0x10
	;; [unrolled: 1-line block ×3, first 2 shown]
	s_wait_kmcnt 0x0
	s_bitcmp1_b32 s11, 0
	s_cselect_b32 s4, -1, 0
	s_delay_alu instid0(SALU_CYCLE_1)
	s_and_b32 vcc_lo, exec_lo, s4
	s_xor_b32 s4, s4, -1
	s_cbranch_vccnz .LBB20_2
; %bb.1:
	s_load_b32 s8, s[8:9], 0x0
.LBB20_2:
	s_and_not1_b32 vcc_lo, exec_lo, s4
	s_cbranch_vccnz .LBB20_4
; %bb.3:
	s_load_b32 s2, s[2:3], 0x0
.LBB20_4:
	s_wait_kmcnt 0x0
	s_cmp_neq_f32 s8, 0
	s_cselect_b32 s3, -1, 0
	s_cmp_neq_f32 s2, 1.0
	s_cselect_b32 s4, -1, 0
	s_delay_alu instid0(SALU_CYCLE_1) | instskip(NEXT) | instid1(SALU_CYCLE_1)
	s_or_b32 s3, s3, s4
	s_and_not1_b32 vcc_lo, exec_lo, s3
	s_cbranch_vccnz .LBB20_14
; %bb.5:
	s_load_b96 s[4:6], s[0:1], 0x0
	s_bfe_u32 s3, ttmp6, 0x4000c
	s_and_b32 s7, ttmp6, 15
	s_add_co_i32 s3, s3, 1
	s_getreg_b32 s9, hwreg(HW_REG_IB_STS2, 6, 4)
	s_mul_i32 s3, ttmp9, s3
	s_delay_alu instid0(SALU_CYCLE_1) | instskip(SKIP_2) | instid1(SALU_CYCLE_1)
	s_add_co_i32 s7, s7, s3
	s_cmp_eq_u32 s9, 0
	s_cselect_b32 s3, ttmp9, s7
	v_lshl_or_b32 v0, s3, 9, v0
	s_mov_b32 s3, exec_lo
	s_wait_kmcnt 0x0
	s_delay_alu instid0(VALU_DEP_1)
	v_cmpx_gt_i32_e64 s4, v0
	s_cbranch_execz .LBB20_14
; %bb.6:
	s_load_b64 s[12:13], s[0:1], 0x38
	s_cmp_lt_i32 s6, 1
	s_cbranch_scc1 .LBB20_15
; %bb.7:
	s_clause 0x1
	s_load_b128 s[20:23], s[0:1], 0x18
	s_load_b64 s[14:15], s[0:1], 0x28
	s_wait_xcnt 0x0
	s_add_co_i32 s0, s6, -1
	s_delay_alu instid0(SALU_CYCLE_1)
	v_dual_mov_b32 v6, s0 :: v_dual_ashrrev_i32 v1, 31, v0
	s_ashr_i32 s17, s4, 31
	s_mov_b32 s16, s4
	s_mov_b32 s1, 0
	s_lshl_b64 s[6:7], s[16:17], 2
	s_wait_kmcnt 0x0
	v_add_nc_u64_e32 v[4:5], s[22:23], v[0:1]
	v_lshl_add_u64 v[2:3], v[0:1], 2, s[20:21]
	v_mov_b32_e32 v1, 0
	s_branch .LBB20_9
.LBB20_8:                               ;   in Loop: Header=BB20_9 Depth=1
	s_or_b32 exec_lo, exec_lo, s3
	v_sub_co_u32 v6, s3, v6, 1
	v_add_nc_u64_e32 v[2:3], s[6:7], v[2:3]
	v_add_nc_u64_e32 v[4:5], s[16:17], v[4:5]
	s_or_b32 s0, s0, s3
	s_delay_alu instid0(SALU_CYCLE_1) | instskip(NEXT) | instid1(SALU_CYCLE_1)
	s_and_b32 s0, exec_lo, s0
	s_or_b32 s1, s0, s1
	s_delay_alu instid0(SALU_CYCLE_1)
	s_and_not1_b32 exec_lo, exec_lo, s1
	s_cbranch_execz .LBB20_11
.LBB20_9:                               ; =>This Inner Loop Header: Depth=1
	global_load_b32 v7, v[2:3], off th:TH_LOAD_NT
	s_wait_loadcnt 0x0
	v_subrev_nc_u32_e32 v7, s10, v7
	s_delay_alu instid0(VALU_DEP_1) | instskip(SKIP_2) | instid1(SALU_CYCLE_1)
	v_cmp_gt_i32_e32 vcc_lo, 0, v7
	v_cmp_le_i32_e64 s0, s5, v7
	s_or_b32 s0, vcc_lo, s0
	s_xor_b32 s4, s0, -1
	s_delay_alu instid0(SALU_CYCLE_1)
	s_and_saveexec_b32 s3, s4
	s_cbranch_execz .LBB20_8
; %bb.10:                               ;   in Loop: Header=BB20_9 Depth=1
	global_load_i8 v8, v[4:5], off th:TH_LOAD_NT
	global_load_i8 v9, v7, s[14:15]
	s_wait_loadcnt 0x1
	s_wait_xcnt 0x0
	v_cvt_f32_i32_e32 v7, v8
	s_wait_loadcnt 0x0
	v_cvt_f32_i32_e32 v8, v9
	s_delay_alu instid0(VALU_DEP_1)
	v_fmac_f32_e32 v1, v7, v8
	s_branch .LBB20_8
.LBB20_11:
	s_or_b32 exec_lo, exec_lo, s1
	v_mul_f32_e32 v1, s8, v1
	s_cmp_eq_f32 s2, 0
	s_mov_b32 s0, 0
	s_cbranch_scc0 .LBB20_16
.LBB20_12:
	s_wait_kmcnt 0x0
	global_store_b32 v0, v1, s[12:13] scale_offset th:TH_STORE_NT
	s_and_not1_b32 vcc_lo, exec_lo, s0
	s_cbranch_vccnz .LBB20_14
.LBB20_13:
	s_wait_kmcnt 0x0
	global_load_b32 v2, v0, s[12:13] scale_offset th:TH_LOAD_NT
	s_wait_loadcnt 0x0
	s_wait_xcnt 0x1
	v_fmac_f32_e32 v1, s2, v2
	global_store_b32 v0, v1, s[12:13] scale_offset th:TH_STORE_NT
.LBB20_14:
	s_endpgm
.LBB20_15:
	v_mov_b32_e32 v1, 0
	s_delay_alu instid0(VALU_DEP_1)
	v_mul_f32_e32 v1, s8, v1
	s_cmp_eq_f32 s2, 0
	s_wait_xcnt 0x0
	s_mov_b32 s0, 0
	s_cbranch_scc1 .LBB20_12
.LBB20_16:
	s_branch .LBB20_13
	.section	.rodata,"a",@progbits
	.p2align	6, 0x0
	.amdhsa_kernel _ZN9rocsparseL13ellmvn_kernelILj512EiaaffEEvT0_S1_S1_NS_24const_host_device_scalarIT4_EEPKS1_PKT1_PKT2_S4_PT3_21rocsparse_index_base_b
		.amdhsa_group_segment_fixed_size 0
		.amdhsa_private_segment_fixed_size 0
		.amdhsa_kernarg_size 72
		.amdhsa_user_sgpr_count 2
		.amdhsa_user_sgpr_dispatch_ptr 0
		.amdhsa_user_sgpr_queue_ptr 0
		.amdhsa_user_sgpr_kernarg_segment_ptr 1
		.amdhsa_user_sgpr_dispatch_id 0
		.amdhsa_user_sgpr_kernarg_preload_length 0
		.amdhsa_user_sgpr_kernarg_preload_offset 0
		.amdhsa_user_sgpr_private_segment_size 0
		.amdhsa_wavefront_size32 1
		.amdhsa_uses_dynamic_stack 0
		.amdhsa_enable_private_segment 0
		.amdhsa_system_sgpr_workgroup_id_x 1
		.amdhsa_system_sgpr_workgroup_id_y 0
		.amdhsa_system_sgpr_workgroup_id_z 0
		.amdhsa_system_sgpr_workgroup_info 0
		.amdhsa_system_vgpr_workitem_id 0
		.amdhsa_next_free_vgpr 10
		.amdhsa_next_free_sgpr 24
		.amdhsa_named_barrier_count 0
		.amdhsa_reserve_vcc 1
		.amdhsa_float_round_mode_32 0
		.amdhsa_float_round_mode_16_64 0
		.amdhsa_float_denorm_mode_32 3
		.amdhsa_float_denorm_mode_16_64 3
		.amdhsa_fp16_overflow 0
		.amdhsa_memory_ordered 1
		.amdhsa_forward_progress 1
		.amdhsa_inst_pref_size 5
		.amdhsa_round_robin_scheduling 0
		.amdhsa_exception_fp_ieee_invalid_op 0
		.amdhsa_exception_fp_denorm_src 0
		.amdhsa_exception_fp_ieee_div_zero 0
		.amdhsa_exception_fp_ieee_overflow 0
		.amdhsa_exception_fp_ieee_underflow 0
		.amdhsa_exception_fp_ieee_inexact 0
		.amdhsa_exception_int_div_zero 0
	.end_amdhsa_kernel
	.section	.text._ZN9rocsparseL13ellmvn_kernelILj512EiaaffEEvT0_S1_S1_NS_24const_host_device_scalarIT4_EEPKS1_PKT1_PKT2_S4_PT3_21rocsparse_index_base_b,"axG",@progbits,_ZN9rocsparseL13ellmvn_kernelILj512EiaaffEEvT0_S1_S1_NS_24const_host_device_scalarIT4_EEPKS1_PKT1_PKT2_S4_PT3_21rocsparse_index_base_b,comdat
.Lfunc_end20:
	.size	_ZN9rocsparseL13ellmvn_kernelILj512EiaaffEEvT0_S1_S1_NS_24const_host_device_scalarIT4_EEPKS1_PKT1_PKT2_S4_PT3_21rocsparse_index_base_b, .Lfunc_end20-_ZN9rocsparseL13ellmvn_kernelILj512EiaaffEEvT0_S1_S1_NS_24const_host_device_scalarIT4_EEPKS1_PKT1_PKT2_S4_PT3_21rocsparse_index_base_b
                                        ; -- End function
	.set _ZN9rocsparseL13ellmvn_kernelILj512EiaaffEEvT0_S1_S1_NS_24const_host_device_scalarIT4_EEPKS1_PKT1_PKT2_S4_PT3_21rocsparse_index_base_b.num_vgpr, 10
	.set _ZN9rocsparseL13ellmvn_kernelILj512EiaaffEEvT0_S1_S1_NS_24const_host_device_scalarIT4_EEPKS1_PKT1_PKT2_S4_PT3_21rocsparse_index_base_b.num_agpr, 0
	.set _ZN9rocsparseL13ellmvn_kernelILj512EiaaffEEvT0_S1_S1_NS_24const_host_device_scalarIT4_EEPKS1_PKT1_PKT2_S4_PT3_21rocsparse_index_base_b.numbered_sgpr, 24
	.set _ZN9rocsparseL13ellmvn_kernelILj512EiaaffEEvT0_S1_S1_NS_24const_host_device_scalarIT4_EEPKS1_PKT1_PKT2_S4_PT3_21rocsparse_index_base_b.num_named_barrier, 0
	.set _ZN9rocsparseL13ellmvn_kernelILj512EiaaffEEvT0_S1_S1_NS_24const_host_device_scalarIT4_EEPKS1_PKT1_PKT2_S4_PT3_21rocsparse_index_base_b.private_seg_size, 0
	.set _ZN9rocsparseL13ellmvn_kernelILj512EiaaffEEvT0_S1_S1_NS_24const_host_device_scalarIT4_EEPKS1_PKT1_PKT2_S4_PT3_21rocsparse_index_base_b.uses_vcc, 1
	.set _ZN9rocsparseL13ellmvn_kernelILj512EiaaffEEvT0_S1_S1_NS_24const_host_device_scalarIT4_EEPKS1_PKT1_PKT2_S4_PT3_21rocsparse_index_base_b.uses_flat_scratch, 0
	.set _ZN9rocsparseL13ellmvn_kernelILj512EiaaffEEvT0_S1_S1_NS_24const_host_device_scalarIT4_EEPKS1_PKT1_PKT2_S4_PT3_21rocsparse_index_base_b.has_dyn_sized_stack, 0
	.set _ZN9rocsparseL13ellmvn_kernelILj512EiaaffEEvT0_S1_S1_NS_24const_host_device_scalarIT4_EEPKS1_PKT1_PKT2_S4_PT3_21rocsparse_index_base_b.has_recursion, 0
	.set _ZN9rocsparseL13ellmvn_kernelILj512EiaaffEEvT0_S1_S1_NS_24const_host_device_scalarIT4_EEPKS1_PKT1_PKT2_S4_PT3_21rocsparse_index_base_b.has_indirect_call, 0
	.section	.AMDGPU.csdata,"",@progbits
; Kernel info:
; codeLenInByte = 572
; TotalNumSgprs: 26
; NumVgprs: 10
; ScratchSize: 0
; MemoryBound: 0
; FloatMode: 240
; IeeeMode: 1
; LDSByteSize: 0 bytes/workgroup (compile time only)
; SGPRBlocks: 0
; VGPRBlocks: 0
; NumSGPRsForWavesPerEU: 26
; NumVGPRsForWavesPerEU: 10
; NamedBarCnt: 0
; Occupancy: 16
; WaveLimiterHint : 1
; COMPUTE_PGM_RSRC2:SCRATCH_EN: 0
; COMPUTE_PGM_RSRC2:USER_SGPR: 2
; COMPUTE_PGM_RSRC2:TRAP_HANDLER: 0
; COMPUTE_PGM_RSRC2:TGID_X_EN: 1
; COMPUTE_PGM_RSRC2:TGID_Y_EN: 0
; COMPUTE_PGM_RSRC2:TGID_Z_EN: 0
; COMPUTE_PGM_RSRC2:TIDIG_COMP_CNT: 0
	.section	.text._ZN9rocsparseL13ellmvt_kernelILj1024EiaaffEEv20rocsparse_operation_T0_S2_S2_NS_24const_host_device_scalarIT4_EEPKS2_PKT1_PKT2_PT3_21rocsparse_index_base_b,"axG",@progbits,_ZN9rocsparseL13ellmvt_kernelILj1024EiaaffEEv20rocsparse_operation_T0_S2_S2_NS_24const_host_device_scalarIT4_EEPKS2_PKT1_PKT2_PT3_21rocsparse_index_base_b,comdat
	.globl	_ZN9rocsparseL13ellmvt_kernelILj1024EiaaffEEv20rocsparse_operation_T0_S2_S2_NS_24const_host_device_scalarIT4_EEPKS2_PKT1_PKT2_PT3_21rocsparse_index_base_b ; -- Begin function _ZN9rocsparseL13ellmvt_kernelILj1024EiaaffEEv20rocsparse_operation_T0_S2_S2_NS_24const_host_device_scalarIT4_EEPKS2_PKT1_PKT2_PT3_21rocsparse_index_base_b
	.p2align	8
	.type	_ZN9rocsparseL13ellmvt_kernelILj1024EiaaffEEv20rocsparse_operation_T0_S2_S2_NS_24const_host_device_scalarIT4_EEPKS2_PKT1_PKT2_PT3_21rocsparse_index_base_b,@function
_ZN9rocsparseL13ellmvt_kernelILj1024EiaaffEEv20rocsparse_operation_T0_S2_S2_NS_24const_host_device_scalarIT4_EEPKS2_PKT1_PKT2_PT3_21rocsparse_index_base_b: ; @_ZN9rocsparseL13ellmvt_kernelILj1024EiaaffEEv20rocsparse_operation_T0_S2_S2_NS_24const_host_device_scalarIT4_EEPKS2_PKT1_PKT2_PT3_21rocsparse_index_base_b
; %bb.0:
	s_clause 0x1
	s_load_b64 s[2:3], s[0:1], 0x38
	s_load_b64 s[16:17], s[0:1], 0x10
	s_wait_kmcnt 0x0
	s_bitcmp1_b32 s3, 0
	s_cselect_b32 s3, -1, 0
	s_delay_alu instid0(SALU_CYCLE_1)
	s_and_b32 vcc_lo, exec_lo, s3
	s_cbranch_vccnz .LBB21_2
; %bb.1:
	s_load_b32 s16, s[16:17], 0x0
.LBB21_2:
	s_wait_kmcnt 0x0
	s_cmp_eq_f32 s16, 0
	s_cbranch_scc1 .LBB21_9
; %bb.3:
	s_load_b96 s[12:14], s[0:1], 0x4
	s_bfe_u32 s3, ttmp6, 0x4000c
	s_and_b32 s4, ttmp6, 15
	s_add_co_i32 s3, s3, 1
	s_getreg_b32 s5, hwreg(HW_REG_IB_STS2, 6, 4)
	s_mul_i32 s3, ttmp9, s3
	s_delay_alu instid0(SALU_CYCLE_1) | instskip(SKIP_2) | instid1(SALU_CYCLE_1)
	s_add_co_i32 s4, s4, s3
	s_cmp_eq_u32 s5, 0
	s_cselect_b32 s3, ttmp9, s4
	v_lshl_or_b32 v2, s3, 10, v0
	s_mov_b32 s3, exec_lo
	s_wait_kmcnt 0x0
	s_delay_alu instid0(VALU_DEP_1)
	v_cmpx_gt_i32_e64 s12, v2
	s_cbranch_execz .LBB21_9
; %bb.4:
	s_cmp_lt_i32 s14, 1
	s_cbranch_scc1 .LBB21_9
; %bb.5:
	s_load_b256 s[4:11], s[0:1], 0x18
	s_wait_xcnt 0x0
	s_mov_b32 s1, 0
                                        ; implicit-def: $sgpr3
	s_wait_kmcnt 0x0
	global_load_i8 v0, v2, s[8:9]
	s_wait_xcnt 0x0
	s_ashr_i32 s9, s12, 31
	s_mov_b32 s8, s12
	s_wait_loadcnt 0x0
	v_cvt_f32_i32_e32 v4, v0
	s_delay_alu instid0(VALU_DEP_1) | instskip(NEXT) | instid1(VALU_DEP_1)
	v_dual_mul_f32 v4, s16, v4 :: v_dual_ashrrev_i32 v3, 31, v2
	v_add_nc_u64_e32 v[0:1], s[6:7], v[2:3]
	v_lshl_add_u64 v[2:3], v[2:3], 2, s[4:5]
	s_lshl_b64 s[4:5], s[8:9], 2
	s_branch .LBB21_7
.LBB21_6:                               ;   in Loop: Header=BB21_7 Depth=1
	s_wait_xcnt 0x0
	s_or_b32 exec_lo, exec_lo, s0
	s_delay_alu instid0(SALU_CYCLE_1) | instskip(NEXT) | instid1(SALU_CYCLE_1)
	s_and_b32 s0, exec_lo, s3
	s_or_b32 s1, s0, s1
	s_delay_alu instid0(SALU_CYCLE_1)
	s_and_not1_b32 exec_lo, exec_lo, s1
	s_cbranch_execz .LBB21_9
.LBB21_7:                               ; =>This Inner Loop Header: Depth=1
	global_load_b32 v5, v[2:3], off th:TH_LOAD_NT
	s_or_b32 s3, s3, exec_lo
	s_wait_loadcnt 0x0
	v_subrev_nc_u32_e32 v5, s2, v5
	s_delay_alu instid0(VALU_DEP_1)
	v_cmp_lt_i32_e32 vcc_lo, -1, v5
	v_cmp_gt_i32_e64 s0, s13, v5
	s_and_b32 s6, vcc_lo, s0
	s_wait_xcnt 0x0
	s_and_saveexec_b32 s0, s6
	s_cbranch_execz .LBB21_6
; %bb.8:                                ;   in Loop: Header=BB21_7 Depth=1
	global_load_i8 v6, v[0:1], off th:TH_LOAD_NT
	s_add_co_i32 s14, s14, -1
	v_add_nc_u64_e32 v[2:3], s[4:5], v[2:3]
	s_cmp_eq_u32 s14, 0
	s_wait_xcnt 0x0
	v_add_nc_u64_e32 v[0:1], s[8:9], v[0:1]
	s_cselect_b32 s6, -1, 0
	s_and_not1_b32 s3, s3, exec_lo
	s_and_b32 s6, s6, exec_lo
	s_delay_alu instid0(SALU_CYCLE_1) | instskip(SKIP_2) | instid1(VALU_DEP_1)
	s_or_b32 s3, s3, s6
	s_wait_loadcnt 0x0
	v_cvt_f32_i32_e32 v6, v6
	v_mul_f32_e32 v6, v4, v6
	global_atomic_add_f32 v5, v6, s[10:11] scale_offset scope:SCOPE_DEV
	s_branch .LBB21_6
.LBB21_9:
	s_endpgm
	.section	.rodata,"a",@progbits
	.p2align	6, 0x0
	.amdhsa_kernel _ZN9rocsparseL13ellmvt_kernelILj1024EiaaffEEv20rocsparse_operation_T0_S2_S2_NS_24const_host_device_scalarIT4_EEPKS2_PKT1_PKT2_PT3_21rocsparse_index_base_b
		.amdhsa_group_segment_fixed_size 0
		.amdhsa_private_segment_fixed_size 0
		.amdhsa_kernarg_size 64
		.amdhsa_user_sgpr_count 2
		.amdhsa_user_sgpr_dispatch_ptr 0
		.amdhsa_user_sgpr_queue_ptr 0
		.amdhsa_user_sgpr_kernarg_segment_ptr 1
		.amdhsa_user_sgpr_dispatch_id 0
		.amdhsa_user_sgpr_kernarg_preload_length 0
		.amdhsa_user_sgpr_kernarg_preload_offset 0
		.amdhsa_user_sgpr_private_segment_size 0
		.amdhsa_wavefront_size32 1
		.amdhsa_uses_dynamic_stack 0
		.amdhsa_enable_private_segment 0
		.amdhsa_system_sgpr_workgroup_id_x 1
		.amdhsa_system_sgpr_workgroup_id_y 0
		.amdhsa_system_sgpr_workgroup_id_z 0
		.amdhsa_system_sgpr_workgroup_info 0
		.amdhsa_system_vgpr_workitem_id 0
		.amdhsa_next_free_vgpr 7
		.amdhsa_next_free_sgpr 18
		.amdhsa_named_barrier_count 0
		.amdhsa_reserve_vcc 1
		.amdhsa_float_round_mode_32 0
		.amdhsa_float_round_mode_16_64 0
		.amdhsa_float_denorm_mode_32 3
		.amdhsa_float_denorm_mode_16_64 3
		.amdhsa_fp16_overflow 0
		.amdhsa_memory_ordered 1
		.amdhsa_forward_progress 1
		.amdhsa_inst_pref_size 4
		.amdhsa_round_robin_scheduling 0
		.amdhsa_exception_fp_ieee_invalid_op 0
		.amdhsa_exception_fp_denorm_src 0
		.amdhsa_exception_fp_ieee_div_zero 0
		.amdhsa_exception_fp_ieee_overflow 0
		.amdhsa_exception_fp_ieee_underflow 0
		.amdhsa_exception_fp_ieee_inexact 0
		.amdhsa_exception_int_div_zero 0
	.end_amdhsa_kernel
	.section	.text._ZN9rocsparseL13ellmvt_kernelILj1024EiaaffEEv20rocsparse_operation_T0_S2_S2_NS_24const_host_device_scalarIT4_EEPKS2_PKT1_PKT2_PT3_21rocsparse_index_base_b,"axG",@progbits,_ZN9rocsparseL13ellmvt_kernelILj1024EiaaffEEv20rocsparse_operation_T0_S2_S2_NS_24const_host_device_scalarIT4_EEPKS2_PKT1_PKT2_PT3_21rocsparse_index_base_b,comdat
.Lfunc_end21:
	.size	_ZN9rocsparseL13ellmvt_kernelILj1024EiaaffEEv20rocsparse_operation_T0_S2_S2_NS_24const_host_device_scalarIT4_EEPKS2_PKT1_PKT2_PT3_21rocsparse_index_base_b, .Lfunc_end21-_ZN9rocsparseL13ellmvt_kernelILj1024EiaaffEEv20rocsparse_operation_T0_S2_S2_NS_24const_host_device_scalarIT4_EEPKS2_PKT1_PKT2_PT3_21rocsparse_index_base_b
                                        ; -- End function
	.set _ZN9rocsparseL13ellmvt_kernelILj1024EiaaffEEv20rocsparse_operation_T0_S2_S2_NS_24const_host_device_scalarIT4_EEPKS2_PKT1_PKT2_PT3_21rocsparse_index_base_b.num_vgpr, 7
	.set _ZN9rocsparseL13ellmvt_kernelILj1024EiaaffEEv20rocsparse_operation_T0_S2_S2_NS_24const_host_device_scalarIT4_EEPKS2_PKT1_PKT2_PT3_21rocsparse_index_base_b.num_agpr, 0
	.set _ZN9rocsparseL13ellmvt_kernelILj1024EiaaffEEv20rocsparse_operation_T0_S2_S2_NS_24const_host_device_scalarIT4_EEPKS2_PKT1_PKT2_PT3_21rocsparse_index_base_b.numbered_sgpr, 18
	.set _ZN9rocsparseL13ellmvt_kernelILj1024EiaaffEEv20rocsparse_operation_T0_S2_S2_NS_24const_host_device_scalarIT4_EEPKS2_PKT1_PKT2_PT3_21rocsparse_index_base_b.num_named_barrier, 0
	.set _ZN9rocsparseL13ellmvt_kernelILj1024EiaaffEEv20rocsparse_operation_T0_S2_S2_NS_24const_host_device_scalarIT4_EEPKS2_PKT1_PKT2_PT3_21rocsparse_index_base_b.private_seg_size, 0
	.set _ZN9rocsparseL13ellmvt_kernelILj1024EiaaffEEv20rocsparse_operation_T0_S2_S2_NS_24const_host_device_scalarIT4_EEPKS2_PKT1_PKT2_PT3_21rocsparse_index_base_b.uses_vcc, 1
	.set _ZN9rocsparseL13ellmvt_kernelILj1024EiaaffEEv20rocsparse_operation_T0_S2_S2_NS_24const_host_device_scalarIT4_EEPKS2_PKT1_PKT2_PT3_21rocsparse_index_base_b.uses_flat_scratch, 0
	.set _ZN9rocsparseL13ellmvt_kernelILj1024EiaaffEEv20rocsparse_operation_T0_S2_S2_NS_24const_host_device_scalarIT4_EEPKS2_PKT1_PKT2_PT3_21rocsparse_index_base_b.has_dyn_sized_stack, 0
	.set _ZN9rocsparseL13ellmvt_kernelILj1024EiaaffEEv20rocsparse_operation_T0_S2_S2_NS_24const_host_device_scalarIT4_EEPKS2_PKT1_PKT2_PT3_21rocsparse_index_base_b.has_recursion, 0
	.set _ZN9rocsparseL13ellmvt_kernelILj1024EiaaffEEv20rocsparse_operation_T0_S2_S2_NS_24const_host_device_scalarIT4_EEPKS2_PKT1_PKT2_PT3_21rocsparse_index_base_b.has_indirect_call, 0
	.section	.AMDGPU.csdata,"",@progbits
; Kernel info:
; codeLenInByte = 408
; TotalNumSgprs: 20
; NumVgprs: 7
; ScratchSize: 0
; MemoryBound: 0
; FloatMode: 240
; IeeeMode: 1
; LDSByteSize: 0 bytes/workgroup (compile time only)
; SGPRBlocks: 0
; VGPRBlocks: 0
; NumSGPRsForWavesPerEU: 20
; NumVGPRsForWavesPerEU: 7
; NamedBarCnt: 0
; Occupancy: 16
; WaveLimiterHint : 1
; COMPUTE_PGM_RSRC2:SCRATCH_EN: 0
; COMPUTE_PGM_RSRC2:USER_SGPR: 2
; COMPUTE_PGM_RSRC2:TRAP_HANDLER: 0
; COMPUTE_PGM_RSRC2:TGID_X_EN: 1
; COMPUTE_PGM_RSRC2:TGID_Y_EN: 0
; COMPUTE_PGM_RSRC2:TGID_Z_EN: 0
; COMPUTE_PGM_RSRC2:TIDIG_COMP_CNT: 0
	.section	.text._ZN9rocsparseL13ellmvn_kernelILj512ElaaffEEvT0_S1_S1_NS_24const_host_device_scalarIT4_EEPKS1_PKT1_PKT2_S4_PT3_21rocsparse_index_base_b,"axG",@progbits,_ZN9rocsparseL13ellmvn_kernelILj512ElaaffEEvT0_S1_S1_NS_24const_host_device_scalarIT4_EEPKS1_PKT1_PKT2_S4_PT3_21rocsparse_index_base_b,comdat
	.globl	_ZN9rocsparseL13ellmvn_kernelILj512ElaaffEEvT0_S1_S1_NS_24const_host_device_scalarIT4_EEPKS1_PKT1_PKT2_S4_PT3_21rocsparse_index_base_b ; -- Begin function _ZN9rocsparseL13ellmvn_kernelILj512ElaaffEEvT0_S1_S1_NS_24const_host_device_scalarIT4_EEPKS1_PKT1_PKT2_S4_PT3_21rocsparse_index_base_b
	.p2align	8
	.type	_ZN9rocsparseL13ellmvn_kernelILj512ElaaffEEvT0_S1_S1_NS_24const_host_device_scalarIT4_EEPKS1_PKT1_PKT2_S4_PT3_21rocsparse_index_base_b,@function
_ZN9rocsparseL13ellmvn_kernelILj512ElaaffEEvT0_S1_S1_NS_24const_host_device_scalarIT4_EEPKS1_PKT1_PKT2_S4_PT3_21rocsparse_index_base_b: ; @_ZN9rocsparseL13ellmvn_kernelILj512ElaaffEEvT0_S1_S1_NS_24const_host_device_scalarIT4_EEPKS1_PKT1_PKT2_S4_PT3_21rocsparse_index_base_b
; %bb.0:
	s_clause 0x2
	s_load_b64 s[14:15], s[0:1], 0x48
	s_load_b64 s[12:13], s[0:1], 0x38
	s_load_b256 s[4:11], s[0:1], 0x0
	s_wait_kmcnt 0x0
	s_bitcmp1_b32 s15, 0
	s_cselect_b32 s2, -1, 0
	s_delay_alu instid0(SALU_CYCLE_1)
	s_and_b32 vcc_lo, exec_lo, s2
	s_xor_b32 s2, s2, -1
	s_cbranch_vccnz .LBB22_2
; %bb.1:
	s_load_b32 s10, s[10:11], 0x0
.LBB22_2:
	s_and_not1_b32 vcc_lo, exec_lo, s2
	s_cbranch_vccnz .LBB22_4
; %bb.3:
	s_load_b32 s12, s[12:13], 0x0
.LBB22_4:
	s_wait_kmcnt 0x0
	s_cmp_neq_f32 s10, 0
	s_cselect_b32 s2, -1, 0
	s_cmp_neq_f32 s12, 1.0
	s_cselect_b32 s3, -1, 0
	s_delay_alu instid0(SALU_CYCLE_1) | instskip(NEXT) | instid1(SALU_CYCLE_1)
	s_or_b32 s2, s2, s3
	s_and_not1_b32 vcc_lo, exec_lo, s2
	s_cbranch_vccnz .LBB22_15
; %bb.5:
	s_bfe_u32 s2, ttmp6, 0x4000c
	s_and_b32 s3, ttmp6, 15
	s_add_co_i32 s2, s2, 1
	s_getreg_b32 s11, hwreg(HW_REG_IB_STS2, 6, 4)
	s_mul_i32 s2, ttmp9, s2
	v_mov_b32_e32 v1, 0
	s_add_co_i32 s3, s3, s2
	s_cmp_eq_u32 s11, 0
	s_cselect_b32 s2, ttmp9, s3
	s_delay_alu instid0(SALU_CYCLE_1) | instskip(SKIP_1) | instid1(VALU_DEP_1)
	v_lshl_or_b32 v0, s2, 9, v0
	s_mov_b32 s2, exec_lo
	v_cmpx_gt_i64_e64 s[4:5], v[0:1]
	s_cbranch_execz .LBB22_15
; %bb.6:
	v_cmp_lt_i64_e64 s2, s[8:9], 1
	v_mov_b32_e32 v8, v1
	s_and_b32 vcc_lo, exec_lo, s2
	s_cbranch_vccnz .LBB22_12
; %bb.7:
	s_clause 0x1
	s_load_b128 s[20:23], s[0:1], 0x20
	s_load_b64 s[16:17], s[0:1], 0x30
	v_mov_b32_e32 v8, 0
	s_mov_b32 s15, 0
	s_add_nc_u64 s[8:9], s[8:9], -1
	s_lshl_b64 s[18:19], s[4:5], 3
	s_mov_b32 s3, s15
	s_wait_kmcnt 0x0
	v_add_nc_u64_e32 v[2:3], s[22:23], v[0:1]
	v_lshl_add_u64 v[4:5], v[0:1], 3, s[20:21]
	s_branch .LBB22_9
.LBB22_8:                               ;   in Loop: Header=BB22_9 Depth=1
	s_or_b32 exec_lo, exec_lo, s11
	s_cmp_eq_u64 s[8:9], 0
	v_add_nc_u64_e32 v[4:5], s[18:19], v[4:5]
	s_cselect_b32 s11, -1, 0
	v_add_nc_u64_e32 v[2:3], s[4:5], v[2:3]
	s_or_b32 s2, s2, s11
	s_add_nc_u64 s[8:9], s[8:9], -1
	s_and_b32 s2, exec_lo, s2
	s_delay_alu instid0(SALU_CYCLE_1) | instskip(NEXT) | instid1(SALU_CYCLE_1)
	s_or_b32 s3, s2, s3
	s_and_not1_b32 exec_lo, exec_lo, s3
	s_cbranch_execz .LBB22_11
.LBB22_9:                               ; =>This Inner Loop Header: Depth=1
	global_load_b64 v[6:7], v[4:5], off th:TH_LOAD_NT
	s_wait_loadcnt 0x0
	v_sub_nc_u64_e64 v[6:7], v[6:7], s[14:15]
	s_delay_alu instid0(VALU_DEP_1) | instskip(SKIP_2) | instid1(SALU_CYCLE_1)
	v_cmp_gt_i64_e32 vcc_lo, 0, v[6:7]
	v_cmp_le_i64_e64 s2, s[6:7], v[6:7]
	s_or_b32 s2, vcc_lo, s2
	s_xor_b32 s13, s2, -1
	s_delay_alu instid0(SALU_CYCLE_1)
	s_and_saveexec_b32 s11, s13
	s_cbranch_execz .LBB22_8
; %bb.10:                               ;   in Loop: Header=BB22_9 Depth=1
	v_add_nc_u64_e32 v[6:7], s[16:17], v[6:7]
	global_load_i8 v9, v[2:3], off th:TH_LOAD_NT
	global_load_i8 v10, v[6:7], off
	s_wait_loadcnt 0x1
	s_wait_xcnt 0x0
	v_cvt_f32_i32_e32 v6, v9
	s_wait_loadcnt 0x0
	v_cvt_f32_i32_e32 v7, v10
	s_delay_alu instid0(VALU_DEP_1)
	v_fmac_f32_e32 v8, v6, v7
	s_branch .LBB22_8
.LBB22_11:
	s_or_b32 exec_lo, exec_lo, s3
.LBB22_12:
	s_load_b64 s[0:1], s[0:1], 0x40
	s_delay_alu instid0(VALU_DEP_1)
	v_mul_f32_e32 v2, s10, v8
	s_cmp_eq_f32 s12, 0
	s_wait_kmcnt 0x0
	v_lshl_add_u64 v[0:1], v[0:1], 2, s[0:1]
	s_mov_b32 s0, 0
	s_cbranch_scc0 .LBB22_16
; %bb.13:
	global_store_b32 v[0:1], v2, off th:TH_STORE_NT
	s_and_not1_b32 vcc_lo, exec_lo, s0
	s_cbranch_vccnz .LBB22_15
.LBB22_14:
	global_load_b32 v3, v[0:1], off th:TH_LOAD_NT
	s_wait_loadcnt 0x0
	s_wait_xcnt 0x1
	v_fmac_f32_e32 v2, s12, v3
	global_store_b32 v[0:1], v2, off th:TH_STORE_NT
.LBB22_15:
	s_endpgm
.LBB22_16:
	s_branch .LBB22_14
	.section	.rodata,"a",@progbits
	.p2align	6, 0x0
	.amdhsa_kernel _ZN9rocsparseL13ellmvn_kernelILj512ElaaffEEvT0_S1_S1_NS_24const_host_device_scalarIT4_EEPKS1_PKT1_PKT2_S4_PT3_21rocsparse_index_base_b
		.amdhsa_group_segment_fixed_size 0
		.amdhsa_private_segment_fixed_size 0
		.amdhsa_kernarg_size 80
		.amdhsa_user_sgpr_count 2
		.amdhsa_user_sgpr_dispatch_ptr 0
		.amdhsa_user_sgpr_queue_ptr 0
		.amdhsa_user_sgpr_kernarg_segment_ptr 1
		.amdhsa_user_sgpr_dispatch_id 0
		.amdhsa_user_sgpr_kernarg_preload_length 0
		.amdhsa_user_sgpr_kernarg_preload_offset 0
		.amdhsa_user_sgpr_private_segment_size 0
		.amdhsa_wavefront_size32 1
		.amdhsa_uses_dynamic_stack 0
		.amdhsa_enable_private_segment 0
		.amdhsa_system_sgpr_workgroup_id_x 1
		.amdhsa_system_sgpr_workgroup_id_y 0
		.amdhsa_system_sgpr_workgroup_id_z 0
		.amdhsa_system_sgpr_workgroup_info 0
		.amdhsa_system_vgpr_workitem_id 0
		.amdhsa_next_free_vgpr 11
		.amdhsa_next_free_sgpr 24
		.amdhsa_named_barrier_count 0
		.amdhsa_reserve_vcc 1
		.amdhsa_float_round_mode_32 0
		.amdhsa_float_round_mode_16_64 0
		.amdhsa_float_denorm_mode_32 3
		.amdhsa_float_denorm_mode_16_64 3
		.amdhsa_fp16_overflow 0
		.amdhsa_memory_ordered 1
		.amdhsa_forward_progress 1
		.amdhsa_inst_pref_size 5
		.amdhsa_round_robin_scheduling 0
		.amdhsa_exception_fp_ieee_invalid_op 0
		.amdhsa_exception_fp_denorm_src 0
		.amdhsa_exception_fp_ieee_div_zero 0
		.amdhsa_exception_fp_ieee_overflow 0
		.amdhsa_exception_fp_ieee_underflow 0
		.amdhsa_exception_fp_ieee_inexact 0
		.amdhsa_exception_int_div_zero 0
	.end_amdhsa_kernel
	.section	.text._ZN9rocsparseL13ellmvn_kernelILj512ElaaffEEvT0_S1_S1_NS_24const_host_device_scalarIT4_EEPKS1_PKT1_PKT2_S4_PT3_21rocsparse_index_base_b,"axG",@progbits,_ZN9rocsparseL13ellmvn_kernelILj512ElaaffEEvT0_S1_S1_NS_24const_host_device_scalarIT4_EEPKS1_PKT1_PKT2_S4_PT3_21rocsparse_index_base_b,comdat
.Lfunc_end22:
	.size	_ZN9rocsparseL13ellmvn_kernelILj512ElaaffEEvT0_S1_S1_NS_24const_host_device_scalarIT4_EEPKS1_PKT1_PKT2_S4_PT3_21rocsparse_index_base_b, .Lfunc_end22-_ZN9rocsparseL13ellmvn_kernelILj512ElaaffEEvT0_S1_S1_NS_24const_host_device_scalarIT4_EEPKS1_PKT1_PKT2_S4_PT3_21rocsparse_index_base_b
                                        ; -- End function
	.set _ZN9rocsparseL13ellmvn_kernelILj512ElaaffEEvT0_S1_S1_NS_24const_host_device_scalarIT4_EEPKS1_PKT1_PKT2_S4_PT3_21rocsparse_index_base_b.num_vgpr, 11
	.set _ZN9rocsparseL13ellmvn_kernelILj512ElaaffEEvT0_S1_S1_NS_24const_host_device_scalarIT4_EEPKS1_PKT1_PKT2_S4_PT3_21rocsparse_index_base_b.num_agpr, 0
	.set _ZN9rocsparseL13ellmvn_kernelILj512ElaaffEEvT0_S1_S1_NS_24const_host_device_scalarIT4_EEPKS1_PKT1_PKT2_S4_PT3_21rocsparse_index_base_b.numbered_sgpr, 24
	.set _ZN9rocsparseL13ellmvn_kernelILj512ElaaffEEvT0_S1_S1_NS_24const_host_device_scalarIT4_EEPKS1_PKT1_PKT2_S4_PT3_21rocsparse_index_base_b.num_named_barrier, 0
	.set _ZN9rocsparseL13ellmvn_kernelILj512ElaaffEEvT0_S1_S1_NS_24const_host_device_scalarIT4_EEPKS1_PKT1_PKT2_S4_PT3_21rocsparse_index_base_b.private_seg_size, 0
	.set _ZN9rocsparseL13ellmvn_kernelILj512ElaaffEEvT0_S1_S1_NS_24const_host_device_scalarIT4_EEPKS1_PKT1_PKT2_S4_PT3_21rocsparse_index_base_b.uses_vcc, 1
	.set _ZN9rocsparseL13ellmvn_kernelILj512ElaaffEEvT0_S1_S1_NS_24const_host_device_scalarIT4_EEPKS1_PKT1_PKT2_S4_PT3_21rocsparse_index_base_b.uses_flat_scratch, 0
	.set _ZN9rocsparseL13ellmvn_kernelILj512ElaaffEEvT0_S1_S1_NS_24const_host_device_scalarIT4_EEPKS1_PKT1_PKT2_S4_PT3_21rocsparse_index_base_b.has_dyn_sized_stack, 0
	.set _ZN9rocsparseL13ellmvn_kernelILj512ElaaffEEvT0_S1_S1_NS_24const_host_device_scalarIT4_EEPKS1_PKT1_PKT2_S4_PT3_21rocsparse_index_base_b.has_recursion, 0
	.set _ZN9rocsparseL13ellmvn_kernelILj512ElaaffEEvT0_S1_S1_NS_24const_host_device_scalarIT4_EEPKS1_PKT1_PKT2_S4_PT3_21rocsparse_index_base_b.has_indirect_call, 0
	.section	.AMDGPU.csdata,"",@progbits
; Kernel info:
; codeLenInByte = 540
; TotalNumSgprs: 26
; NumVgprs: 11
; ScratchSize: 0
; MemoryBound: 0
; FloatMode: 240
; IeeeMode: 1
; LDSByteSize: 0 bytes/workgroup (compile time only)
; SGPRBlocks: 0
; VGPRBlocks: 0
; NumSGPRsForWavesPerEU: 26
; NumVGPRsForWavesPerEU: 11
; NamedBarCnt: 0
; Occupancy: 16
; WaveLimiterHint : 1
; COMPUTE_PGM_RSRC2:SCRATCH_EN: 0
; COMPUTE_PGM_RSRC2:USER_SGPR: 2
; COMPUTE_PGM_RSRC2:TRAP_HANDLER: 0
; COMPUTE_PGM_RSRC2:TGID_X_EN: 1
; COMPUTE_PGM_RSRC2:TGID_Y_EN: 0
; COMPUTE_PGM_RSRC2:TGID_Z_EN: 0
; COMPUTE_PGM_RSRC2:TIDIG_COMP_CNT: 0
	.section	.text._ZN9rocsparseL13ellmvt_kernelILj1024ElaaffEEv20rocsparse_operation_T0_S2_S2_NS_24const_host_device_scalarIT4_EEPKS2_PKT1_PKT2_PT3_21rocsparse_index_base_b,"axG",@progbits,_ZN9rocsparseL13ellmvt_kernelILj1024ElaaffEEv20rocsparse_operation_T0_S2_S2_NS_24const_host_device_scalarIT4_EEPKS2_PKT1_PKT2_PT3_21rocsparse_index_base_b,comdat
	.globl	_ZN9rocsparseL13ellmvt_kernelILj1024ElaaffEEv20rocsparse_operation_T0_S2_S2_NS_24const_host_device_scalarIT4_EEPKS2_PKT1_PKT2_PT3_21rocsparse_index_base_b ; -- Begin function _ZN9rocsparseL13ellmvt_kernelILj1024ElaaffEEv20rocsparse_operation_T0_S2_S2_NS_24const_host_device_scalarIT4_EEPKS2_PKT1_PKT2_PT3_21rocsparse_index_base_b
	.p2align	8
	.type	_ZN9rocsparseL13ellmvt_kernelILj1024ElaaffEEv20rocsparse_operation_T0_S2_S2_NS_24const_host_device_scalarIT4_EEPKS2_PKT1_PKT2_PT3_21rocsparse_index_base_b,@function
_ZN9rocsparseL13ellmvt_kernelILj1024ElaaffEEv20rocsparse_operation_T0_S2_S2_NS_24const_host_device_scalarIT4_EEPKS2_PKT1_PKT2_PT3_21rocsparse_index_base_b: ; @_ZN9rocsparseL13ellmvt_kernelILj1024ElaaffEEv20rocsparse_operation_T0_S2_S2_NS_24const_host_device_scalarIT4_EEPKS2_PKT1_PKT2_PT3_21rocsparse_index_base_b
; %bb.0:
	s_clause 0x1
	s_load_b64 s[2:3], s[0:1], 0x48
	s_load_b256 s[4:11], s[0:1], 0x8
	s_wait_kmcnt 0x0
	s_bitcmp1_b32 s3, 0
	s_cselect_b32 s3, -1, 0
	s_delay_alu instid0(SALU_CYCLE_1)
	s_and_b32 vcc_lo, exec_lo, s3
	s_cbranch_vccnz .LBB23_2
; %bb.1:
	s_load_b32 s10, s[10:11], 0x0
.LBB23_2:
	s_wait_kmcnt 0x0
	s_cmp_eq_f32 s10, 0
	s_cbranch_scc1 .LBB23_9
; %bb.3:
	s_bfe_u32 s3, ttmp6, 0x4000c
	s_and_b32 s11, ttmp6, 15
	s_add_co_i32 s3, s3, 1
	s_getreg_b32 s12, hwreg(HW_REG_IB_STS2, 6, 4)
	s_mul_i32 s3, ttmp9, s3
	v_mov_b32_e32 v3, 0
	s_add_co_i32 s11, s11, s3
	s_cmp_eq_u32 s12, 0
	s_cselect_b32 s3, ttmp9, s11
	s_delay_alu instid0(SALU_CYCLE_1) | instskip(SKIP_1) | instid1(VALU_DEP_1)
	v_lshl_or_b32 v2, s3, 10, v0
	s_mov_b32 s3, exec_lo
	v_cmpx_gt_i64_e64 s[4:5], v[2:3]
	s_cbranch_execz .LBB23_9
; %bb.4:
	v_cmp_lt_i64_e64 s3, s[8:9], 1
	s_and_b32 vcc_lo, exec_lo, s3
	s_cbranch_vccnz .LBB23_9
; %bb.5:
	s_load_b256 s[12:19], s[0:1], 0x28
	s_mov_b32 s3, 0
	s_wait_xcnt 0x0
	s_mov_b32 s1, s3
	s_wait_kmcnt 0x0
	v_add_nc_u64_e32 v[0:1], s[16:17], v[2:3]
	global_load_i8 v0, v[0:1], off
	s_wait_loadcnt 0x0
	v_cvt_f32_i32_e32 v4, v0
	v_add_nc_u64_e32 v[0:1], s[14:15], v[2:3]
	v_lshl_add_u64 v[2:3], v[2:3], 3, s[12:13]
                                        ; implicit-def: $sgpr12
	s_delay_alu instid0(VALU_DEP_3)
	v_mul_f32_e32 v6, s10, v4
	s_lshl_b64 s[10:11], s[4:5], 3
	s_branch .LBB23_7
.LBB23_6:                               ;   in Loop: Header=BB23_7 Depth=1
	s_wait_xcnt 0x0
	s_or_b32 exec_lo, exec_lo, s0
	s_delay_alu instid0(SALU_CYCLE_1) | instskip(NEXT) | instid1(SALU_CYCLE_1)
	s_and_b32 s0, exec_lo, s12
	s_or_b32 s1, s0, s1
	s_delay_alu instid0(SALU_CYCLE_1)
	s_and_not1_b32 exec_lo, exec_lo, s1
	s_cbranch_execz .LBB23_9
.LBB23_7:                               ; =>This Inner Loop Header: Depth=1
	global_load_b64 v[4:5], v[2:3], off th:TH_LOAD_NT
	s_or_b32 s12, s12, exec_lo
	s_wait_loadcnt 0x0
	v_sub_nc_u64_e64 v[4:5], v[4:5], s[2:3]
	s_delay_alu instid0(VALU_DEP_1)
	v_cmp_lt_i64_e32 vcc_lo, -1, v[4:5]
	v_cmp_gt_i64_e64 s0, s[6:7], v[4:5]
	s_and_b32 s13, vcc_lo, s0
	s_wait_xcnt 0x0
	s_and_saveexec_b32 s0, s13
	s_cbranch_execz .LBB23_6
; %bb.8:                                ;   in Loop: Header=BB23_7 Depth=1
	global_load_i8 v7, v[0:1], off th:TH_LOAD_NT
	v_lshl_add_u64 v[4:5], v[4:5], 2, s[18:19]
	s_add_nc_u64 s[8:9], s[8:9], -1
	v_add_nc_u64_e32 v[2:3], s[10:11], v[2:3]
	s_cmp_eq_u64 s[8:9], 0
	s_wait_xcnt 0x0
	v_add_nc_u64_e32 v[0:1], s[4:5], v[0:1]
	s_cselect_b32 s13, -1, 0
	s_and_not1_b32 s12, s12, exec_lo
	s_and_b32 s13, s13, exec_lo
	s_delay_alu instid0(SALU_CYCLE_1) | instskip(SKIP_2) | instid1(VALU_DEP_1)
	s_or_b32 s12, s12, s13
	s_wait_loadcnt 0x0
	v_cvt_f32_i32_e32 v7, v7
	v_mul_f32_e32 v7, v6, v7
	global_atomic_add_f32 v[4:5], v7, off scope:SCOPE_DEV
	s_branch .LBB23_6
.LBB23_9:
	s_endpgm
	.section	.rodata,"a",@progbits
	.p2align	6, 0x0
	.amdhsa_kernel _ZN9rocsparseL13ellmvt_kernelILj1024ElaaffEEv20rocsparse_operation_T0_S2_S2_NS_24const_host_device_scalarIT4_EEPKS2_PKT1_PKT2_PT3_21rocsparse_index_base_b
		.amdhsa_group_segment_fixed_size 0
		.amdhsa_private_segment_fixed_size 0
		.amdhsa_kernarg_size 80
		.amdhsa_user_sgpr_count 2
		.amdhsa_user_sgpr_dispatch_ptr 0
		.amdhsa_user_sgpr_queue_ptr 0
		.amdhsa_user_sgpr_kernarg_segment_ptr 1
		.amdhsa_user_sgpr_dispatch_id 0
		.amdhsa_user_sgpr_kernarg_preload_length 0
		.amdhsa_user_sgpr_kernarg_preload_offset 0
		.amdhsa_user_sgpr_private_segment_size 0
		.amdhsa_wavefront_size32 1
		.amdhsa_uses_dynamic_stack 0
		.amdhsa_enable_private_segment 0
		.amdhsa_system_sgpr_workgroup_id_x 1
		.amdhsa_system_sgpr_workgroup_id_y 0
		.amdhsa_system_sgpr_workgroup_id_z 0
		.amdhsa_system_sgpr_workgroup_info 0
		.amdhsa_system_vgpr_workitem_id 0
		.amdhsa_next_free_vgpr 8
		.amdhsa_next_free_sgpr 20
		.amdhsa_named_barrier_count 0
		.amdhsa_reserve_vcc 1
		.amdhsa_float_round_mode_32 0
		.amdhsa_float_round_mode_16_64 0
		.amdhsa_float_denorm_mode_32 3
		.amdhsa_float_denorm_mode_16_64 3
		.amdhsa_fp16_overflow 0
		.amdhsa_memory_ordered 1
		.amdhsa_forward_progress 1
		.amdhsa_inst_pref_size 4
		.amdhsa_round_robin_scheduling 0
		.amdhsa_exception_fp_ieee_invalid_op 0
		.amdhsa_exception_fp_denorm_src 0
		.amdhsa_exception_fp_ieee_div_zero 0
		.amdhsa_exception_fp_ieee_overflow 0
		.amdhsa_exception_fp_ieee_underflow 0
		.amdhsa_exception_fp_ieee_inexact 0
		.amdhsa_exception_int_div_zero 0
	.end_amdhsa_kernel
	.section	.text._ZN9rocsparseL13ellmvt_kernelILj1024ElaaffEEv20rocsparse_operation_T0_S2_S2_NS_24const_host_device_scalarIT4_EEPKS2_PKT1_PKT2_PT3_21rocsparse_index_base_b,"axG",@progbits,_ZN9rocsparseL13ellmvt_kernelILj1024ElaaffEEv20rocsparse_operation_T0_S2_S2_NS_24const_host_device_scalarIT4_EEPKS2_PKT1_PKT2_PT3_21rocsparse_index_base_b,comdat
.Lfunc_end23:
	.size	_ZN9rocsparseL13ellmvt_kernelILj1024ElaaffEEv20rocsparse_operation_T0_S2_S2_NS_24const_host_device_scalarIT4_EEPKS2_PKT1_PKT2_PT3_21rocsparse_index_base_b, .Lfunc_end23-_ZN9rocsparseL13ellmvt_kernelILj1024ElaaffEEv20rocsparse_operation_T0_S2_S2_NS_24const_host_device_scalarIT4_EEPKS2_PKT1_PKT2_PT3_21rocsparse_index_base_b
                                        ; -- End function
	.set _ZN9rocsparseL13ellmvt_kernelILj1024ElaaffEEv20rocsparse_operation_T0_S2_S2_NS_24const_host_device_scalarIT4_EEPKS2_PKT1_PKT2_PT3_21rocsparse_index_base_b.num_vgpr, 8
	.set _ZN9rocsparseL13ellmvt_kernelILj1024ElaaffEEv20rocsparse_operation_T0_S2_S2_NS_24const_host_device_scalarIT4_EEPKS2_PKT1_PKT2_PT3_21rocsparse_index_base_b.num_agpr, 0
	.set _ZN9rocsparseL13ellmvt_kernelILj1024ElaaffEEv20rocsparse_operation_T0_S2_S2_NS_24const_host_device_scalarIT4_EEPKS2_PKT1_PKT2_PT3_21rocsparse_index_base_b.numbered_sgpr, 20
	.set _ZN9rocsparseL13ellmvt_kernelILj1024ElaaffEEv20rocsparse_operation_T0_S2_S2_NS_24const_host_device_scalarIT4_EEPKS2_PKT1_PKT2_PT3_21rocsparse_index_base_b.num_named_barrier, 0
	.set _ZN9rocsparseL13ellmvt_kernelILj1024ElaaffEEv20rocsparse_operation_T0_S2_S2_NS_24const_host_device_scalarIT4_EEPKS2_PKT1_PKT2_PT3_21rocsparse_index_base_b.private_seg_size, 0
	.set _ZN9rocsparseL13ellmvt_kernelILj1024ElaaffEEv20rocsparse_operation_T0_S2_S2_NS_24const_host_device_scalarIT4_EEPKS2_PKT1_PKT2_PT3_21rocsparse_index_base_b.uses_vcc, 1
	.set _ZN9rocsparseL13ellmvt_kernelILj1024ElaaffEEv20rocsparse_operation_T0_S2_S2_NS_24const_host_device_scalarIT4_EEPKS2_PKT1_PKT2_PT3_21rocsparse_index_base_b.uses_flat_scratch, 0
	.set _ZN9rocsparseL13ellmvt_kernelILj1024ElaaffEEv20rocsparse_operation_T0_S2_S2_NS_24const_host_device_scalarIT4_EEPKS2_PKT1_PKT2_PT3_21rocsparse_index_base_b.has_dyn_sized_stack, 0
	.set _ZN9rocsparseL13ellmvt_kernelILj1024ElaaffEEv20rocsparse_operation_T0_S2_S2_NS_24const_host_device_scalarIT4_EEPKS2_PKT1_PKT2_PT3_21rocsparse_index_base_b.has_recursion, 0
	.set _ZN9rocsparseL13ellmvt_kernelILj1024ElaaffEEv20rocsparse_operation_T0_S2_S2_NS_24const_host_device_scalarIT4_EEPKS2_PKT1_PKT2_PT3_21rocsparse_index_base_b.has_indirect_call, 0
	.section	.AMDGPU.csdata,"",@progbits
; Kernel info:
; codeLenInByte = 408
; TotalNumSgprs: 22
; NumVgprs: 8
; ScratchSize: 0
; MemoryBound: 0
; FloatMode: 240
; IeeeMode: 1
; LDSByteSize: 0 bytes/workgroup (compile time only)
; SGPRBlocks: 0
; VGPRBlocks: 0
; NumSGPRsForWavesPerEU: 22
; NumVGPRsForWavesPerEU: 8
; NamedBarCnt: 0
; Occupancy: 16
; WaveLimiterHint : 1
; COMPUTE_PGM_RSRC2:SCRATCH_EN: 0
; COMPUTE_PGM_RSRC2:USER_SGPR: 2
; COMPUTE_PGM_RSRC2:TRAP_HANDLER: 0
; COMPUTE_PGM_RSRC2:TGID_X_EN: 1
; COMPUTE_PGM_RSRC2:TGID_Y_EN: 0
; COMPUTE_PGM_RSRC2:TGID_Z_EN: 0
; COMPUTE_PGM_RSRC2:TIDIG_COMP_CNT: 0
	.section	.text._ZN9rocsparseL13ellmvn_kernelILj512EiDF16_DF16_ffEEvT0_S1_S1_NS_24const_host_device_scalarIT4_EEPKS1_PKT1_PKT2_S4_PT3_21rocsparse_index_base_b,"axG",@progbits,_ZN9rocsparseL13ellmvn_kernelILj512EiDF16_DF16_ffEEvT0_S1_S1_NS_24const_host_device_scalarIT4_EEPKS1_PKT1_PKT2_S4_PT3_21rocsparse_index_base_b,comdat
	.globl	_ZN9rocsparseL13ellmvn_kernelILj512EiDF16_DF16_ffEEvT0_S1_S1_NS_24const_host_device_scalarIT4_EEPKS1_PKT1_PKT2_S4_PT3_21rocsparse_index_base_b ; -- Begin function _ZN9rocsparseL13ellmvn_kernelILj512EiDF16_DF16_ffEEvT0_S1_S1_NS_24const_host_device_scalarIT4_EEPKS1_PKT1_PKT2_S4_PT3_21rocsparse_index_base_b
	.p2align	8
	.type	_ZN9rocsparseL13ellmvn_kernelILj512EiDF16_DF16_ffEEvT0_S1_S1_NS_24const_host_device_scalarIT4_EEPKS1_PKT1_PKT2_S4_PT3_21rocsparse_index_base_b,@function
_ZN9rocsparseL13ellmvn_kernelILj512EiDF16_DF16_ffEEvT0_S1_S1_NS_24const_host_device_scalarIT4_EEPKS1_PKT1_PKT2_S4_PT3_21rocsparse_index_base_b: ; @_ZN9rocsparseL13ellmvn_kernelILj512EiDF16_DF16_ffEEvT0_S1_S1_NS_24const_host_device_scalarIT4_EEPKS1_PKT1_PKT2_S4_PT3_21rocsparse_index_base_b
; %bb.0:
	s_clause 0x2
	s_load_b64 s[10:11], s[0:1], 0x40
	s_load_b64 s[8:9], s[0:1], 0x10
	s_load_b64 s[2:3], s[0:1], 0x30
	s_wait_kmcnt 0x0
	s_bitcmp1_b32 s11, 0
	s_cselect_b32 s4, -1, 0
	s_delay_alu instid0(SALU_CYCLE_1)
	s_and_b32 vcc_lo, exec_lo, s4
	s_xor_b32 s4, s4, -1
	s_cbranch_vccnz .LBB24_2
; %bb.1:
	s_load_b32 s8, s[8:9], 0x0
.LBB24_2:
	s_and_not1_b32 vcc_lo, exec_lo, s4
	s_cbranch_vccnz .LBB24_4
; %bb.3:
	s_load_b32 s2, s[2:3], 0x0
.LBB24_4:
	s_wait_kmcnt 0x0
	s_cmp_neq_f32 s8, 0
	s_cselect_b32 s3, -1, 0
	s_cmp_neq_f32 s2, 1.0
	s_cselect_b32 s4, -1, 0
	s_delay_alu instid0(SALU_CYCLE_1) | instskip(NEXT) | instid1(SALU_CYCLE_1)
	s_or_b32 s3, s3, s4
	s_and_not1_b32 vcc_lo, exec_lo, s3
	s_cbranch_vccnz .LBB24_14
; %bb.5:
	s_load_b96 s[4:6], s[0:1], 0x0
	s_bfe_u32 s3, ttmp6, 0x4000c
	s_and_b32 s7, ttmp6, 15
	s_add_co_i32 s3, s3, 1
	s_getreg_b32 s9, hwreg(HW_REG_IB_STS2, 6, 4)
	s_mul_i32 s3, ttmp9, s3
	s_delay_alu instid0(SALU_CYCLE_1) | instskip(SKIP_2) | instid1(SALU_CYCLE_1)
	s_add_co_i32 s7, s7, s3
	s_cmp_eq_u32 s9, 0
	s_cselect_b32 s3, ttmp9, s7
	v_lshl_or_b32 v0, s3, 9, v0
	s_mov_b32 s3, exec_lo
	s_wait_kmcnt 0x0
	s_delay_alu instid0(VALU_DEP_1)
	v_cmpx_gt_i32_e64 s4, v0
	s_cbranch_execz .LBB24_14
; %bb.6:
	s_load_b64 s[12:13], s[0:1], 0x38
	s_cmp_lt_i32 s6, 1
	s_cbranch_scc1 .LBB24_15
; %bb.7:
	s_clause 0x1
	s_load_b128 s[16:19], s[0:1], 0x18
	s_load_b64 s[14:15], s[0:1], 0x28
	v_dual_mov_b32 v6, 0 :: v_dual_ashrrev_i32 v1, 31, v0
	s_add_co_i32 s3, s6, -1
	s_wait_xcnt 0x0
	s_ashr_i32 s1, s4, 31
	s_mov_b32 s0, s4
	s_delay_alu instid0(SALU_CYCLE_1)
	s_lshl_b64 s[6:7], s[0:1], 2
	s_wait_kmcnt 0x0
	v_lshl_add_u64 v[2:3], v[0:1], 2, s[16:17]
	v_lshl_add_u64 v[4:5], v[0:1], 1, s[18:19]
	v_mov_b32_e32 v1, s3
	s_lshl_b64 s[16:17], s[0:1], 1
	s_mov_b32 s1, 0
	s_branch .LBB24_9
.LBB24_8:                               ;   in Loop: Header=BB24_9 Depth=1
	s_or_b32 exec_lo, exec_lo, s3
	v_sub_co_u32 v1, s3, v1, 1
	v_add_nc_u64_e32 v[2:3], s[6:7], v[2:3]
	v_add_nc_u64_e32 v[4:5], s[16:17], v[4:5]
	s_or_b32 s0, s0, s3
	s_delay_alu instid0(SALU_CYCLE_1) | instskip(NEXT) | instid1(SALU_CYCLE_1)
	s_and_b32 s0, exec_lo, s0
	s_or_b32 s1, s0, s1
	s_delay_alu instid0(SALU_CYCLE_1)
	s_and_not1_b32 exec_lo, exec_lo, s1
	s_cbranch_execz .LBB24_11
.LBB24_9:                               ; =>This Inner Loop Header: Depth=1
	global_load_b32 v7, v[2:3], off th:TH_LOAD_NT
	s_wait_loadcnt 0x0
	v_subrev_nc_u32_e32 v7, s10, v7
	s_delay_alu instid0(VALU_DEP_1) | instskip(SKIP_2) | instid1(SALU_CYCLE_1)
	v_cmp_gt_i32_e32 vcc_lo, 0, v7
	v_cmp_le_i32_e64 s0, s5, v7
	s_or_b32 s0, vcc_lo, s0
	s_xor_b32 s4, s0, -1
	s_delay_alu instid0(SALU_CYCLE_1)
	s_and_saveexec_b32 s3, s4
	s_cbranch_execz .LBB24_8
; %bb.10:                               ;   in Loop: Header=BB24_9 Depth=1
	global_load_u16 v8, v[4:5], off
	global_load_u16 v9, v7, s[14:15] scale_offset
	s_wait_loadcnt 0x0
	v_fma_mix_f32 v6, v8, v9, v6 op_sel_hi:[1,1,0]
	s_branch .LBB24_8
.LBB24_11:
	s_or_b32 exec_lo, exec_lo, s1
	v_mul_f32_e32 v1, s8, v6
	s_cmp_eq_f32 s2, 0
	s_mov_b32 s0, 0
	s_cbranch_scc0 .LBB24_16
.LBB24_12:
	s_wait_kmcnt 0x0
	global_store_b32 v0, v1, s[12:13] scale_offset th:TH_STORE_NT
	s_and_not1_b32 vcc_lo, exec_lo, s0
	s_cbranch_vccnz .LBB24_14
.LBB24_13:
	s_wait_kmcnt 0x0
	global_load_b32 v2, v0, s[12:13] scale_offset th:TH_LOAD_NT
	s_wait_loadcnt 0x0
	s_wait_xcnt 0x1
	v_fmac_f32_e32 v1, s2, v2
	global_store_b32 v0, v1, s[12:13] scale_offset th:TH_STORE_NT
.LBB24_14:
	s_endpgm
.LBB24_15:
	v_mov_b32_e32 v6, 0
	s_delay_alu instid0(VALU_DEP_1)
	v_mul_f32_e32 v1, s8, v6
	s_cmp_eq_f32 s2, 0
	s_wait_xcnt 0x0
	s_mov_b32 s0, 0
	s_cbranch_scc1 .LBB24_12
.LBB24_16:
	s_branch .LBB24_13
	.section	.rodata,"a",@progbits
	.p2align	6, 0x0
	.amdhsa_kernel _ZN9rocsparseL13ellmvn_kernelILj512EiDF16_DF16_ffEEvT0_S1_S1_NS_24const_host_device_scalarIT4_EEPKS1_PKT1_PKT2_S4_PT3_21rocsparse_index_base_b
		.amdhsa_group_segment_fixed_size 0
		.amdhsa_private_segment_fixed_size 0
		.amdhsa_kernarg_size 72
		.amdhsa_user_sgpr_count 2
		.amdhsa_user_sgpr_dispatch_ptr 0
		.amdhsa_user_sgpr_queue_ptr 0
		.amdhsa_user_sgpr_kernarg_segment_ptr 1
		.amdhsa_user_sgpr_dispatch_id 0
		.amdhsa_user_sgpr_kernarg_preload_length 0
		.amdhsa_user_sgpr_kernarg_preload_offset 0
		.amdhsa_user_sgpr_private_segment_size 0
		.amdhsa_wavefront_size32 1
		.amdhsa_uses_dynamic_stack 0
		.amdhsa_enable_private_segment 0
		.amdhsa_system_sgpr_workgroup_id_x 1
		.amdhsa_system_sgpr_workgroup_id_y 0
		.amdhsa_system_sgpr_workgroup_id_z 0
		.amdhsa_system_sgpr_workgroup_info 0
		.amdhsa_system_vgpr_workitem_id 0
		.amdhsa_next_free_vgpr 10
		.amdhsa_next_free_sgpr 20
		.amdhsa_named_barrier_count 0
		.amdhsa_reserve_vcc 1
		.amdhsa_float_round_mode_32 0
		.amdhsa_float_round_mode_16_64 0
		.amdhsa_float_denorm_mode_32 3
		.amdhsa_float_denorm_mode_16_64 3
		.amdhsa_fp16_overflow 0
		.amdhsa_memory_ordered 1
		.amdhsa_forward_progress 1
		.amdhsa_inst_pref_size 5
		.amdhsa_round_robin_scheduling 0
		.amdhsa_exception_fp_ieee_invalid_op 0
		.amdhsa_exception_fp_denorm_src 0
		.amdhsa_exception_fp_ieee_div_zero 0
		.amdhsa_exception_fp_ieee_overflow 0
		.amdhsa_exception_fp_ieee_underflow 0
		.amdhsa_exception_fp_ieee_inexact 0
		.amdhsa_exception_int_div_zero 0
	.end_amdhsa_kernel
	.section	.text._ZN9rocsparseL13ellmvn_kernelILj512EiDF16_DF16_ffEEvT0_S1_S1_NS_24const_host_device_scalarIT4_EEPKS1_PKT1_PKT2_S4_PT3_21rocsparse_index_base_b,"axG",@progbits,_ZN9rocsparseL13ellmvn_kernelILj512EiDF16_DF16_ffEEvT0_S1_S1_NS_24const_host_device_scalarIT4_EEPKS1_PKT1_PKT2_S4_PT3_21rocsparse_index_base_b,comdat
.Lfunc_end24:
	.size	_ZN9rocsparseL13ellmvn_kernelILj512EiDF16_DF16_ffEEvT0_S1_S1_NS_24const_host_device_scalarIT4_EEPKS1_PKT1_PKT2_S4_PT3_21rocsparse_index_base_b, .Lfunc_end24-_ZN9rocsparseL13ellmvn_kernelILj512EiDF16_DF16_ffEEvT0_S1_S1_NS_24const_host_device_scalarIT4_EEPKS1_PKT1_PKT2_S4_PT3_21rocsparse_index_base_b
                                        ; -- End function
	.set _ZN9rocsparseL13ellmvn_kernelILj512EiDF16_DF16_ffEEvT0_S1_S1_NS_24const_host_device_scalarIT4_EEPKS1_PKT1_PKT2_S4_PT3_21rocsparse_index_base_b.num_vgpr, 10
	.set _ZN9rocsparseL13ellmvn_kernelILj512EiDF16_DF16_ffEEvT0_S1_S1_NS_24const_host_device_scalarIT4_EEPKS1_PKT1_PKT2_S4_PT3_21rocsparse_index_base_b.num_agpr, 0
	.set _ZN9rocsparseL13ellmvn_kernelILj512EiDF16_DF16_ffEEvT0_S1_S1_NS_24const_host_device_scalarIT4_EEPKS1_PKT1_PKT2_S4_PT3_21rocsparse_index_base_b.numbered_sgpr, 20
	.set _ZN9rocsparseL13ellmvn_kernelILj512EiDF16_DF16_ffEEvT0_S1_S1_NS_24const_host_device_scalarIT4_EEPKS1_PKT1_PKT2_S4_PT3_21rocsparse_index_base_b.num_named_barrier, 0
	.set _ZN9rocsparseL13ellmvn_kernelILj512EiDF16_DF16_ffEEvT0_S1_S1_NS_24const_host_device_scalarIT4_EEPKS1_PKT1_PKT2_S4_PT3_21rocsparse_index_base_b.private_seg_size, 0
	.set _ZN9rocsparseL13ellmvn_kernelILj512EiDF16_DF16_ffEEvT0_S1_S1_NS_24const_host_device_scalarIT4_EEPKS1_PKT1_PKT2_S4_PT3_21rocsparse_index_base_b.uses_vcc, 1
	.set _ZN9rocsparseL13ellmvn_kernelILj512EiDF16_DF16_ffEEvT0_S1_S1_NS_24const_host_device_scalarIT4_EEPKS1_PKT1_PKT2_S4_PT3_21rocsparse_index_base_b.uses_flat_scratch, 0
	.set _ZN9rocsparseL13ellmvn_kernelILj512EiDF16_DF16_ffEEvT0_S1_S1_NS_24const_host_device_scalarIT4_EEPKS1_PKT1_PKT2_S4_PT3_21rocsparse_index_base_b.has_dyn_sized_stack, 0
	.set _ZN9rocsparseL13ellmvn_kernelILj512EiDF16_DF16_ffEEvT0_S1_S1_NS_24const_host_device_scalarIT4_EEPKS1_PKT1_PKT2_S4_PT3_21rocsparse_index_base_b.has_recursion, 0
	.set _ZN9rocsparseL13ellmvn_kernelILj512EiDF16_DF16_ffEEvT0_S1_S1_NS_24const_host_device_scalarIT4_EEPKS1_PKT1_PKT2_S4_PT3_21rocsparse_index_base_b.has_indirect_call, 0
	.section	.AMDGPU.csdata,"",@progbits
; Kernel info:
; codeLenInByte = 564
; TotalNumSgprs: 22
; NumVgprs: 10
; ScratchSize: 0
; MemoryBound: 0
; FloatMode: 240
; IeeeMode: 1
; LDSByteSize: 0 bytes/workgroup (compile time only)
; SGPRBlocks: 0
; VGPRBlocks: 0
; NumSGPRsForWavesPerEU: 22
; NumVGPRsForWavesPerEU: 10
; NamedBarCnt: 0
; Occupancy: 16
; WaveLimiterHint : 1
; COMPUTE_PGM_RSRC2:SCRATCH_EN: 0
; COMPUTE_PGM_RSRC2:USER_SGPR: 2
; COMPUTE_PGM_RSRC2:TRAP_HANDLER: 0
; COMPUTE_PGM_RSRC2:TGID_X_EN: 1
; COMPUTE_PGM_RSRC2:TGID_Y_EN: 0
; COMPUTE_PGM_RSRC2:TGID_Z_EN: 0
; COMPUTE_PGM_RSRC2:TIDIG_COMP_CNT: 0
	.section	.text._ZN9rocsparseL13ellmvt_kernelILj1024EiDF16_DF16_ffEEv20rocsparse_operation_T0_S2_S2_NS_24const_host_device_scalarIT4_EEPKS2_PKT1_PKT2_PT3_21rocsparse_index_base_b,"axG",@progbits,_ZN9rocsparseL13ellmvt_kernelILj1024EiDF16_DF16_ffEEv20rocsparse_operation_T0_S2_S2_NS_24const_host_device_scalarIT4_EEPKS2_PKT1_PKT2_PT3_21rocsparse_index_base_b,comdat
	.globl	_ZN9rocsparseL13ellmvt_kernelILj1024EiDF16_DF16_ffEEv20rocsparse_operation_T0_S2_S2_NS_24const_host_device_scalarIT4_EEPKS2_PKT1_PKT2_PT3_21rocsparse_index_base_b ; -- Begin function _ZN9rocsparseL13ellmvt_kernelILj1024EiDF16_DF16_ffEEv20rocsparse_operation_T0_S2_S2_NS_24const_host_device_scalarIT4_EEPKS2_PKT1_PKT2_PT3_21rocsparse_index_base_b
	.p2align	8
	.type	_ZN9rocsparseL13ellmvt_kernelILj1024EiDF16_DF16_ffEEv20rocsparse_operation_T0_S2_S2_NS_24const_host_device_scalarIT4_EEPKS2_PKT1_PKT2_PT3_21rocsparse_index_base_b,@function
_ZN9rocsparseL13ellmvt_kernelILj1024EiDF16_DF16_ffEEv20rocsparse_operation_T0_S2_S2_NS_24const_host_device_scalarIT4_EEPKS2_PKT1_PKT2_PT3_21rocsparse_index_base_b: ; @_ZN9rocsparseL13ellmvt_kernelILj1024EiDF16_DF16_ffEEv20rocsparse_operation_T0_S2_S2_NS_24const_host_device_scalarIT4_EEPKS2_PKT1_PKT2_PT3_21rocsparse_index_base_b
; %bb.0:
	s_clause 0x1
	s_load_b64 s[2:3], s[0:1], 0x38
	s_load_b64 s[16:17], s[0:1], 0x10
	s_wait_kmcnt 0x0
	s_bitcmp1_b32 s3, 0
	s_cselect_b32 s3, -1, 0
	s_delay_alu instid0(SALU_CYCLE_1)
	s_and_b32 vcc_lo, exec_lo, s3
	s_cbranch_vccnz .LBB25_2
; %bb.1:
	s_load_b32 s16, s[16:17], 0x0
.LBB25_2:
	s_wait_kmcnt 0x0
	s_cmp_eq_f32 s16, 0
	s_cbranch_scc1 .LBB25_9
; %bb.3:
	s_load_b96 s[12:14], s[0:1], 0x4
	s_bfe_u32 s3, ttmp6, 0x4000c
	s_and_b32 s4, ttmp6, 15
	s_add_co_i32 s3, s3, 1
	s_getreg_b32 s5, hwreg(HW_REG_IB_STS2, 6, 4)
	s_mul_i32 s3, ttmp9, s3
	s_delay_alu instid0(SALU_CYCLE_1) | instskip(SKIP_2) | instid1(SALU_CYCLE_1)
	s_add_co_i32 s4, s4, s3
	s_cmp_eq_u32 s5, 0
	s_cselect_b32 s3, ttmp9, s4
	v_lshl_or_b32 v2, s3, 10, v0
	s_mov_b32 s3, exec_lo
	s_wait_kmcnt 0x0
	s_delay_alu instid0(VALU_DEP_1)
	v_cmpx_gt_i32_e64 s12, v2
	s_cbranch_execz .LBB25_9
; %bb.4:
	s_cmp_lt_i32 s14, 1
	s_cbranch_scc1 .LBB25_9
; %bb.5:
	s_load_b256 s[4:11], s[0:1], 0x18
	s_wait_xcnt 0x0
	s_ashr_i32 s1, s12, 31
	s_mov_b32 s0, s12
                                        ; implicit-def: $sgpr3
	s_wait_kmcnt 0x0
	global_load_u16 v0, v2, s[8:9] scale_offset
	s_wait_loadcnt 0x0
	v_cvt_f32_f16_e32 v4, v0
	s_delay_alu instid0(VALU_DEP_1) | instskip(NEXT) | instid1(VALU_DEP_1)
	v_dual_mul_f32 v4, s16, v4 :: v_dual_ashrrev_i32 v3, 31, v2
	v_lshl_add_u64 v[0:1], v[2:3], 2, s[4:5]
	v_lshl_add_u64 v[2:3], v[2:3], 1, s[6:7]
	s_lshl_b64 s[4:5], s[0:1], 2
	s_lshl_b64 s[6:7], s[0:1], 1
	s_mov_b32 s1, 0
	s_branch .LBB25_7
.LBB25_6:                               ;   in Loop: Header=BB25_7 Depth=1
	s_wait_xcnt 0x0
	s_or_b32 exec_lo, exec_lo, s0
	s_delay_alu instid0(SALU_CYCLE_1) | instskip(NEXT) | instid1(SALU_CYCLE_1)
	s_and_b32 s0, exec_lo, s3
	s_or_b32 s1, s0, s1
	s_delay_alu instid0(SALU_CYCLE_1)
	s_and_not1_b32 exec_lo, exec_lo, s1
	s_cbranch_execz .LBB25_9
.LBB25_7:                               ; =>This Inner Loop Header: Depth=1
	global_load_b32 v5, v[0:1], off th:TH_LOAD_NT
	s_or_b32 s3, s3, exec_lo
	s_wait_loadcnt 0x0
	v_subrev_nc_u32_e32 v5, s2, v5
	s_delay_alu instid0(VALU_DEP_1)
	v_cmp_lt_i32_e32 vcc_lo, -1, v5
	v_cmp_gt_i32_e64 s0, s13, v5
	s_and_b32 s8, vcc_lo, s0
	s_wait_xcnt 0x0
	s_and_saveexec_b32 s0, s8
	s_cbranch_execz .LBB25_6
; %bb.8:                                ;   in Loop: Header=BB25_7 Depth=1
	global_load_u16 v6, v[2:3], off
	s_add_co_i32 s14, s14, -1
	v_add_nc_u64_e32 v[0:1], s[4:5], v[0:1]
	s_cmp_eq_u32 s14, 0
	s_wait_xcnt 0x0
	v_add_nc_u64_e32 v[2:3], s[6:7], v[2:3]
	s_cselect_b32 s8, -1, 0
	s_and_not1_b32 s3, s3, exec_lo
	s_and_b32 s8, s8, exec_lo
	s_delay_alu instid0(SALU_CYCLE_1) | instskip(SKIP_2) | instid1(VALU_DEP_1)
	s_or_b32 s3, s3, s8
	s_wait_loadcnt 0x0
	v_cvt_f32_f16_e32 v6, v6
	v_mul_f32_e32 v6, v4, v6
	global_atomic_add_f32 v5, v6, s[10:11] scale_offset scope:SCOPE_DEV
	s_branch .LBB25_6
.LBB25_9:
	s_endpgm
	.section	.rodata,"a",@progbits
	.p2align	6, 0x0
	.amdhsa_kernel _ZN9rocsparseL13ellmvt_kernelILj1024EiDF16_DF16_ffEEv20rocsparse_operation_T0_S2_S2_NS_24const_host_device_scalarIT4_EEPKS2_PKT1_PKT2_PT3_21rocsparse_index_base_b
		.amdhsa_group_segment_fixed_size 0
		.amdhsa_private_segment_fixed_size 0
		.amdhsa_kernarg_size 64
		.amdhsa_user_sgpr_count 2
		.amdhsa_user_sgpr_dispatch_ptr 0
		.amdhsa_user_sgpr_queue_ptr 0
		.amdhsa_user_sgpr_kernarg_segment_ptr 1
		.amdhsa_user_sgpr_dispatch_id 0
		.amdhsa_user_sgpr_kernarg_preload_length 0
		.amdhsa_user_sgpr_kernarg_preload_offset 0
		.amdhsa_user_sgpr_private_segment_size 0
		.amdhsa_wavefront_size32 1
		.amdhsa_uses_dynamic_stack 0
		.amdhsa_enable_private_segment 0
		.amdhsa_system_sgpr_workgroup_id_x 1
		.amdhsa_system_sgpr_workgroup_id_y 0
		.amdhsa_system_sgpr_workgroup_id_z 0
		.amdhsa_system_sgpr_workgroup_info 0
		.amdhsa_system_vgpr_workitem_id 0
		.amdhsa_next_free_vgpr 7
		.amdhsa_next_free_sgpr 18
		.amdhsa_named_barrier_count 0
		.amdhsa_reserve_vcc 1
		.amdhsa_float_round_mode_32 0
		.amdhsa_float_round_mode_16_64 0
		.amdhsa_float_denorm_mode_32 3
		.amdhsa_float_denorm_mode_16_64 3
		.amdhsa_fp16_overflow 0
		.amdhsa_memory_ordered 1
		.amdhsa_forward_progress 1
		.amdhsa_inst_pref_size 4
		.amdhsa_round_robin_scheduling 0
		.amdhsa_exception_fp_ieee_invalid_op 0
		.amdhsa_exception_fp_denorm_src 0
		.amdhsa_exception_fp_ieee_div_zero 0
		.amdhsa_exception_fp_ieee_overflow 0
		.amdhsa_exception_fp_ieee_underflow 0
		.amdhsa_exception_fp_ieee_inexact 0
		.amdhsa_exception_int_div_zero 0
	.end_amdhsa_kernel
	.section	.text._ZN9rocsparseL13ellmvt_kernelILj1024EiDF16_DF16_ffEEv20rocsparse_operation_T0_S2_S2_NS_24const_host_device_scalarIT4_EEPKS2_PKT1_PKT2_PT3_21rocsparse_index_base_b,"axG",@progbits,_ZN9rocsparseL13ellmvt_kernelILj1024EiDF16_DF16_ffEEv20rocsparse_operation_T0_S2_S2_NS_24const_host_device_scalarIT4_EEPKS2_PKT1_PKT2_PT3_21rocsparse_index_base_b,comdat
.Lfunc_end25:
	.size	_ZN9rocsparseL13ellmvt_kernelILj1024EiDF16_DF16_ffEEv20rocsparse_operation_T0_S2_S2_NS_24const_host_device_scalarIT4_EEPKS2_PKT1_PKT2_PT3_21rocsparse_index_base_b, .Lfunc_end25-_ZN9rocsparseL13ellmvt_kernelILj1024EiDF16_DF16_ffEEv20rocsparse_operation_T0_S2_S2_NS_24const_host_device_scalarIT4_EEPKS2_PKT1_PKT2_PT3_21rocsparse_index_base_b
                                        ; -- End function
	.set _ZN9rocsparseL13ellmvt_kernelILj1024EiDF16_DF16_ffEEv20rocsparse_operation_T0_S2_S2_NS_24const_host_device_scalarIT4_EEPKS2_PKT1_PKT2_PT3_21rocsparse_index_base_b.num_vgpr, 7
	.set _ZN9rocsparseL13ellmvt_kernelILj1024EiDF16_DF16_ffEEv20rocsparse_operation_T0_S2_S2_NS_24const_host_device_scalarIT4_EEPKS2_PKT1_PKT2_PT3_21rocsparse_index_base_b.num_agpr, 0
	.set _ZN9rocsparseL13ellmvt_kernelILj1024EiDF16_DF16_ffEEv20rocsparse_operation_T0_S2_S2_NS_24const_host_device_scalarIT4_EEPKS2_PKT1_PKT2_PT3_21rocsparse_index_base_b.numbered_sgpr, 18
	.set _ZN9rocsparseL13ellmvt_kernelILj1024EiDF16_DF16_ffEEv20rocsparse_operation_T0_S2_S2_NS_24const_host_device_scalarIT4_EEPKS2_PKT1_PKT2_PT3_21rocsparse_index_base_b.num_named_barrier, 0
	.set _ZN9rocsparseL13ellmvt_kernelILj1024EiDF16_DF16_ffEEv20rocsparse_operation_T0_S2_S2_NS_24const_host_device_scalarIT4_EEPKS2_PKT1_PKT2_PT3_21rocsparse_index_base_b.private_seg_size, 0
	.set _ZN9rocsparseL13ellmvt_kernelILj1024EiDF16_DF16_ffEEv20rocsparse_operation_T0_S2_S2_NS_24const_host_device_scalarIT4_EEPKS2_PKT1_PKT2_PT3_21rocsparse_index_base_b.uses_vcc, 1
	.set _ZN9rocsparseL13ellmvt_kernelILj1024EiDF16_DF16_ffEEv20rocsparse_operation_T0_S2_S2_NS_24const_host_device_scalarIT4_EEPKS2_PKT1_PKT2_PT3_21rocsparse_index_base_b.uses_flat_scratch, 0
	.set _ZN9rocsparseL13ellmvt_kernelILj1024EiDF16_DF16_ffEEv20rocsparse_operation_T0_S2_S2_NS_24const_host_device_scalarIT4_EEPKS2_PKT1_PKT2_PT3_21rocsparse_index_base_b.has_dyn_sized_stack, 0
	.set _ZN9rocsparseL13ellmvt_kernelILj1024EiDF16_DF16_ffEEv20rocsparse_operation_T0_S2_S2_NS_24const_host_device_scalarIT4_EEPKS2_PKT1_PKT2_PT3_21rocsparse_index_base_b.has_recursion, 0
	.set _ZN9rocsparseL13ellmvt_kernelILj1024EiDF16_DF16_ffEEv20rocsparse_operation_T0_S2_S2_NS_24const_host_device_scalarIT4_EEPKS2_PKT1_PKT2_PT3_21rocsparse_index_base_b.has_indirect_call, 0
	.section	.AMDGPU.csdata,"",@progbits
; Kernel info:
; codeLenInByte = 412
; TotalNumSgprs: 20
; NumVgprs: 7
; ScratchSize: 0
; MemoryBound: 0
; FloatMode: 240
; IeeeMode: 1
; LDSByteSize: 0 bytes/workgroup (compile time only)
; SGPRBlocks: 0
; VGPRBlocks: 0
; NumSGPRsForWavesPerEU: 20
; NumVGPRsForWavesPerEU: 7
; NamedBarCnt: 0
; Occupancy: 16
; WaveLimiterHint : 1
; COMPUTE_PGM_RSRC2:SCRATCH_EN: 0
; COMPUTE_PGM_RSRC2:USER_SGPR: 2
; COMPUTE_PGM_RSRC2:TRAP_HANDLER: 0
; COMPUTE_PGM_RSRC2:TGID_X_EN: 1
; COMPUTE_PGM_RSRC2:TGID_Y_EN: 0
; COMPUTE_PGM_RSRC2:TGID_Z_EN: 0
; COMPUTE_PGM_RSRC2:TIDIG_COMP_CNT: 0
	.section	.text._ZN9rocsparseL13ellmvn_kernelILj512ElDF16_DF16_ffEEvT0_S1_S1_NS_24const_host_device_scalarIT4_EEPKS1_PKT1_PKT2_S4_PT3_21rocsparse_index_base_b,"axG",@progbits,_ZN9rocsparseL13ellmvn_kernelILj512ElDF16_DF16_ffEEvT0_S1_S1_NS_24const_host_device_scalarIT4_EEPKS1_PKT1_PKT2_S4_PT3_21rocsparse_index_base_b,comdat
	.globl	_ZN9rocsparseL13ellmvn_kernelILj512ElDF16_DF16_ffEEvT0_S1_S1_NS_24const_host_device_scalarIT4_EEPKS1_PKT1_PKT2_S4_PT3_21rocsparse_index_base_b ; -- Begin function _ZN9rocsparseL13ellmvn_kernelILj512ElDF16_DF16_ffEEvT0_S1_S1_NS_24const_host_device_scalarIT4_EEPKS1_PKT1_PKT2_S4_PT3_21rocsparse_index_base_b
	.p2align	8
	.type	_ZN9rocsparseL13ellmvn_kernelILj512ElDF16_DF16_ffEEvT0_S1_S1_NS_24const_host_device_scalarIT4_EEPKS1_PKT1_PKT2_S4_PT3_21rocsparse_index_base_b,@function
_ZN9rocsparseL13ellmvn_kernelILj512ElDF16_DF16_ffEEvT0_S1_S1_NS_24const_host_device_scalarIT4_EEPKS1_PKT1_PKT2_S4_PT3_21rocsparse_index_base_b: ; @_ZN9rocsparseL13ellmvn_kernelILj512ElDF16_DF16_ffEEvT0_S1_S1_NS_24const_host_device_scalarIT4_EEPKS1_PKT1_PKT2_S4_PT3_21rocsparse_index_base_b
; %bb.0:
	s_clause 0x2
	s_load_b64 s[14:15], s[0:1], 0x48
	s_load_b64 s[12:13], s[0:1], 0x38
	s_load_b256 s[4:11], s[0:1], 0x0
	s_wait_kmcnt 0x0
	s_bitcmp1_b32 s15, 0
	s_cselect_b32 s2, -1, 0
	s_delay_alu instid0(SALU_CYCLE_1)
	s_and_b32 vcc_lo, exec_lo, s2
	s_xor_b32 s2, s2, -1
	s_cbranch_vccnz .LBB26_2
; %bb.1:
	s_load_b32 s10, s[10:11], 0x0
.LBB26_2:
	s_and_not1_b32 vcc_lo, exec_lo, s2
	s_cbranch_vccnz .LBB26_4
; %bb.3:
	s_load_b32 s12, s[12:13], 0x0
.LBB26_4:
	s_wait_kmcnt 0x0
	s_cmp_neq_f32 s10, 0
	s_cselect_b32 s2, -1, 0
	s_cmp_neq_f32 s12, 1.0
	s_cselect_b32 s3, -1, 0
	s_delay_alu instid0(SALU_CYCLE_1) | instskip(NEXT) | instid1(SALU_CYCLE_1)
	s_or_b32 s2, s2, s3
	s_and_not1_b32 vcc_lo, exec_lo, s2
	s_cbranch_vccnz .LBB26_15
; %bb.5:
	s_bfe_u32 s2, ttmp6, 0x4000c
	s_and_b32 s3, ttmp6, 15
	s_add_co_i32 s2, s2, 1
	s_getreg_b32 s11, hwreg(HW_REG_IB_STS2, 6, 4)
	s_mul_i32 s2, ttmp9, s2
	v_mov_b32_e32 v1, 0
	s_add_co_i32 s3, s3, s2
	s_cmp_eq_u32 s11, 0
	s_cselect_b32 s2, ttmp9, s3
	s_delay_alu instid0(SALU_CYCLE_1) | instskip(SKIP_1) | instid1(VALU_DEP_1)
	v_lshl_or_b32 v0, s2, 9, v0
	s_mov_b32 s2, exec_lo
	v_cmpx_gt_i64_e64 s[4:5], v[0:1]
	s_cbranch_execz .LBB26_15
; %bb.6:
	v_cmp_lt_i64_e64 s2, s[8:9], 1
	v_mov_b32_e32 v8, v1
	s_and_b32 vcc_lo, exec_lo, s2
	s_cbranch_vccnz .LBB26_12
; %bb.7:
	s_clause 0x1
	s_load_b128 s[20:23], s[0:1], 0x20
	s_load_b64 s[16:17], s[0:1], 0x30
	v_mov_b32_e32 v8, 0
	s_mov_b32 s15, 0
	s_add_nc_u64 s[8:9], s[8:9], -1
	s_lshl_b64 s[18:19], s[4:5], 3
	s_lshl_b64 s[4:5], s[4:5], 1
	s_mov_b32 s3, s15
	s_wait_kmcnt 0x0
	v_lshl_add_u64 v[2:3], v[0:1], 3, s[20:21]
	v_lshl_add_u64 v[4:5], v[0:1], 1, s[22:23]
	s_branch .LBB26_9
.LBB26_8:                               ;   in Loop: Header=BB26_9 Depth=1
	s_or_b32 exec_lo, exec_lo, s11
	s_cmp_eq_u64 s[8:9], 0
	v_add_nc_u64_e32 v[2:3], s[18:19], v[2:3]
	s_cselect_b32 s11, -1, 0
	v_add_nc_u64_e32 v[4:5], s[4:5], v[4:5]
	s_or_b32 s2, s2, s11
	s_add_nc_u64 s[8:9], s[8:9], -1
	s_and_b32 s2, exec_lo, s2
	s_delay_alu instid0(SALU_CYCLE_1) | instskip(NEXT) | instid1(SALU_CYCLE_1)
	s_or_b32 s3, s2, s3
	s_and_not1_b32 exec_lo, exec_lo, s3
	s_cbranch_execz .LBB26_11
.LBB26_9:                               ; =>This Inner Loop Header: Depth=1
	global_load_b64 v[6:7], v[2:3], off th:TH_LOAD_NT
	s_wait_loadcnt 0x0
	v_sub_nc_u64_e64 v[6:7], v[6:7], s[14:15]
	s_delay_alu instid0(VALU_DEP_1) | instskip(SKIP_2) | instid1(SALU_CYCLE_1)
	v_cmp_gt_i64_e32 vcc_lo, 0, v[6:7]
	v_cmp_le_i64_e64 s2, s[6:7], v[6:7]
	s_or_b32 s2, vcc_lo, s2
	s_xor_b32 s13, s2, -1
	s_delay_alu instid0(SALU_CYCLE_1)
	s_and_saveexec_b32 s11, s13
	s_cbranch_execz .LBB26_8
; %bb.10:                               ;   in Loop: Header=BB26_9 Depth=1
	v_lshl_add_u64 v[6:7], v[6:7], 1, s[16:17]
	global_load_u16 v9, v[4:5], off
	global_load_u16 v10, v[6:7], off
	s_wait_loadcnt 0x0
	v_fma_mix_f32 v8, v9, v10, v8 op_sel_hi:[1,1,0]
	s_branch .LBB26_8
.LBB26_11:
	s_or_b32 exec_lo, exec_lo, s3
.LBB26_12:
	s_load_b64 s[0:1], s[0:1], 0x40
	s_delay_alu instid0(VALU_DEP_1)
	v_mul_f32_e32 v2, s10, v8
	s_cmp_eq_f32 s12, 0
	s_wait_kmcnt 0x0
	v_lshl_add_u64 v[0:1], v[0:1], 2, s[0:1]
	s_mov_b32 s0, 0
	s_cbranch_scc0 .LBB26_16
; %bb.13:
	global_store_b32 v[0:1], v2, off th:TH_STORE_NT
	s_and_not1_b32 vcc_lo, exec_lo, s0
	s_cbranch_vccnz .LBB26_15
.LBB26_14:
	global_load_b32 v3, v[0:1], off th:TH_LOAD_NT
	s_wait_loadcnt 0x0
	s_wait_xcnt 0x1
	v_fmac_f32_e32 v2, s12, v3
	global_store_b32 v[0:1], v2, off th:TH_STORE_NT
.LBB26_15:
	s_endpgm
.LBB26_16:
	s_branch .LBB26_14
	.section	.rodata,"a",@progbits
	.p2align	6, 0x0
	.amdhsa_kernel _ZN9rocsparseL13ellmvn_kernelILj512ElDF16_DF16_ffEEvT0_S1_S1_NS_24const_host_device_scalarIT4_EEPKS1_PKT1_PKT2_S4_PT3_21rocsparse_index_base_b
		.amdhsa_group_segment_fixed_size 0
		.amdhsa_private_segment_fixed_size 0
		.amdhsa_kernarg_size 80
		.amdhsa_user_sgpr_count 2
		.amdhsa_user_sgpr_dispatch_ptr 0
		.amdhsa_user_sgpr_queue_ptr 0
		.amdhsa_user_sgpr_kernarg_segment_ptr 1
		.amdhsa_user_sgpr_dispatch_id 0
		.amdhsa_user_sgpr_kernarg_preload_length 0
		.amdhsa_user_sgpr_kernarg_preload_offset 0
		.amdhsa_user_sgpr_private_segment_size 0
		.amdhsa_wavefront_size32 1
		.amdhsa_uses_dynamic_stack 0
		.amdhsa_enable_private_segment 0
		.amdhsa_system_sgpr_workgroup_id_x 1
		.amdhsa_system_sgpr_workgroup_id_y 0
		.amdhsa_system_sgpr_workgroup_id_z 0
		.amdhsa_system_sgpr_workgroup_info 0
		.amdhsa_system_vgpr_workitem_id 0
		.amdhsa_next_free_vgpr 11
		.amdhsa_next_free_sgpr 24
		.amdhsa_named_barrier_count 0
		.amdhsa_reserve_vcc 1
		.amdhsa_float_round_mode_32 0
		.amdhsa_float_round_mode_16_64 0
		.amdhsa_float_denorm_mode_32 3
		.amdhsa_float_denorm_mode_16_64 3
		.amdhsa_fp16_overflow 0
		.amdhsa_memory_ordered 1
		.amdhsa_forward_progress 1
		.amdhsa_inst_pref_size 5
		.amdhsa_round_robin_scheduling 0
		.amdhsa_exception_fp_ieee_invalid_op 0
		.amdhsa_exception_fp_denorm_src 0
		.amdhsa_exception_fp_ieee_div_zero 0
		.amdhsa_exception_fp_ieee_overflow 0
		.amdhsa_exception_fp_ieee_underflow 0
		.amdhsa_exception_fp_ieee_inexact 0
		.amdhsa_exception_int_div_zero 0
	.end_amdhsa_kernel
	.section	.text._ZN9rocsparseL13ellmvn_kernelILj512ElDF16_DF16_ffEEvT0_S1_S1_NS_24const_host_device_scalarIT4_EEPKS1_PKT1_PKT2_S4_PT3_21rocsparse_index_base_b,"axG",@progbits,_ZN9rocsparseL13ellmvn_kernelILj512ElDF16_DF16_ffEEvT0_S1_S1_NS_24const_host_device_scalarIT4_EEPKS1_PKT1_PKT2_S4_PT3_21rocsparse_index_base_b,comdat
.Lfunc_end26:
	.size	_ZN9rocsparseL13ellmvn_kernelILj512ElDF16_DF16_ffEEvT0_S1_S1_NS_24const_host_device_scalarIT4_EEPKS1_PKT1_PKT2_S4_PT3_21rocsparse_index_base_b, .Lfunc_end26-_ZN9rocsparseL13ellmvn_kernelILj512ElDF16_DF16_ffEEvT0_S1_S1_NS_24const_host_device_scalarIT4_EEPKS1_PKT1_PKT2_S4_PT3_21rocsparse_index_base_b
                                        ; -- End function
	.set _ZN9rocsparseL13ellmvn_kernelILj512ElDF16_DF16_ffEEvT0_S1_S1_NS_24const_host_device_scalarIT4_EEPKS1_PKT1_PKT2_S4_PT3_21rocsparse_index_base_b.num_vgpr, 11
	.set _ZN9rocsparseL13ellmvn_kernelILj512ElDF16_DF16_ffEEvT0_S1_S1_NS_24const_host_device_scalarIT4_EEPKS1_PKT1_PKT2_S4_PT3_21rocsparse_index_base_b.num_agpr, 0
	.set _ZN9rocsparseL13ellmvn_kernelILj512ElDF16_DF16_ffEEvT0_S1_S1_NS_24const_host_device_scalarIT4_EEPKS1_PKT1_PKT2_S4_PT3_21rocsparse_index_base_b.numbered_sgpr, 24
	.set _ZN9rocsparseL13ellmvn_kernelILj512ElDF16_DF16_ffEEvT0_S1_S1_NS_24const_host_device_scalarIT4_EEPKS1_PKT1_PKT2_S4_PT3_21rocsparse_index_base_b.num_named_barrier, 0
	.set _ZN9rocsparseL13ellmvn_kernelILj512ElDF16_DF16_ffEEvT0_S1_S1_NS_24const_host_device_scalarIT4_EEPKS1_PKT1_PKT2_S4_PT3_21rocsparse_index_base_b.private_seg_size, 0
	.set _ZN9rocsparseL13ellmvn_kernelILj512ElDF16_DF16_ffEEvT0_S1_S1_NS_24const_host_device_scalarIT4_EEPKS1_PKT1_PKT2_S4_PT3_21rocsparse_index_base_b.uses_vcc, 1
	.set _ZN9rocsparseL13ellmvn_kernelILj512ElDF16_DF16_ffEEvT0_S1_S1_NS_24const_host_device_scalarIT4_EEPKS1_PKT1_PKT2_S4_PT3_21rocsparse_index_base_b.uses_flat_scratch, 0
	.set _ZN9rocsparseL13ellmvn_kernelILj512ElDF16_DF16_ffEEvT0_S1_S1_NS_24const_host_device_scalarIT4_EEPKS1_PKT1_PKT2_S4_PT3_21rocsparse_index_base_b.has_dyn_sized_stack, 0
	.set _ZN9rocsparseL13ellmvn_kernelILj512ElDF16_DF16_ffEEvT0_S1_S1_NS_24const_host_device_scalarIT4_EEPKS1_PKT1_PKT2_S4_PT3_21rocsparse_index_base_b.has_recursion, 0
	.set _ZN9rocsparseL13ellmvn_kernelILj512ElDF16_DF16_ffEEvT0_S1_S1_NS_24const_host_device_scalarIT4_EEPKS1_PKT1_PKT2_S4_PT3_21rocsparse_index_base_b.has_indirect_call, 0
	.section	.AMDGPU.csdata,"",@progbits
; Kernel info:
; codeLenInByte = 536
; TotalNumSgprs: 26
; NumVgprs: 11
; ScratchSize: 0
; MemoryBound: 0
; FloatMode: 240
; IeeeMode: 1
; LDSByteSize: 0 bytes/workgroup (compile time only)
; SGPRBlocks: 0
; VGPRBlocks: 0
; NumSGPRsForWavesPerEU: 26
; NumVGPRsForWavesPerEU: 11
; NamedBarCnt: 0
; Occupancy: 16
; WaveLimiterHint : 1
; COMPUTE_PGM_RSRC2:SCRATCH_EN: 0
; COMPUTE_PGM_RSRC2:USER_SGPR: 2
; COMPUTE_PGM_RSRC2:TRAP_HANDLER: 0
; COMPUTE_PGM_RSRC2:TGID_X_EN: 1
; COMPUTE_PGM_RSRC2:TGID_Y_EN: 0
; COMPUTE_PGM_RSRC2:TGID_Z_EN: 0
; COMPUTE_PGM_RSRC2:TIDIG_COMP_CNT: 0
	.section	.text._ZN9rocsparseL13ellmvt_kernelILj1024ElDF16_DF16_ffEEv20rocsparse_operation_T0_S2_S2_NS_24const_host_device_scalarIT4_EEPKS2_PKT1_PKT2_PT3_21rocsparse_index_base_b,"axG",@progbits,_ZN9rocsparseL13ellmvt_kernelILj1024ElDF16_DF16_ffEEv20rocsparse_operation_T0_S2_S2_NS_24const_host_device_scalarIT4_EEPKS2_PKT1_PKT2_PT3_21rocsparse_index_base_b,comdat
	.globl	_ZN9rocsparseL13ellmvt_kernelILj1024ElDF16_DF16_ffEEv20rocsparse_operation_T0_S2_S2_NS_24const_host_device_scalarIT4_EEPKS2_PKT1_PKT2_PT3_21rocsparse_index_base_b ; -- Begin function _ZN9rocsparseL13ellmvt_kernelILj1024ElDF16_DF16_ffEEv20rocsparse_operation_T0_S2_S2_NS_24const_host_device_scalarIT4_EEPKS2_PKT1_PKT2_PT3_21rocsparse_index_base_b
	.p2align	8
	.type	_ZN9rocsparseL13ellmvt_kernelILj1024ElDF16_DF16_ffEEv20rocsparse_operation_T0_S2_S2_NS_24const_host_device_scalarIT4_EEPKS2_PKT1_PKT2_PT3_21rocsparse_index_base_b,@function
_ZN9rocsparseL13ellmvt_kernelILj1024ElDF16_DF16_ffEEv20rocsparse_operation_T0_S2_S2_NS_24const_host_device_scalarIT4_EEPKS2_PKT1_PKT2_PT3_21rocsparse_index_base_b: ; @_ZN9rocsparseL13ellmvt_kernelILj1024ElDF16_DF16_ffEEv20rocsparse_operation_T0_S2_S2_NS_24const_host_device_scalarIT4_EEPKS2_PKT1_PKT2_PT3_21rocsparse_index_base_b
; %bb.0:
	s_clause 0x1
	s_load_b64 s[2:3], s[0:1], 0x48
	s_load_b256 s[4:11], s[0:1], 0x8
	s_wait_kmcnt 0x0
	s_bitcmp1_b32 s3, 0
	s_cselect_b32 s3, -1, 0
	s_delay_alu instid0(SALU_CYCLE_1)
	s_and_b32 vcc_lo, exec_lo, s3
	s_cbranch_vccnz .LBB27_2
; %bb.1:
	s_load_b32 s10, s[10:11], 0x0
.LBB27_2:
	s_wait_kmcnt 0x0
	s_cmp_eq_f32 s10, 0
	s_cbranch_scc1 .LBB27_9
; %bb.3:
	s_bfe_u32 s3, ttmp6, 0x4000c
	s_and_b32 s11, ttmp6, 15
	s_add_co_i32 s3, s3, 1
	s_getreg_b32 s12, hwreg(HW_REG_IB_STS2, 6, 4)
	s_mul_i32 s3, ttmp9, s3
	v_mov_b32_e32 v3, 0
	s_add_co_i32 s11, s11, s3
	s_cmp_eq_u32 s12, 0
	s_cselect_b32 s3, ttmp9, s11
	s_delay_alu instid0(SALU_CYCLE_1) | instskip(SKIP_1) | instid1(VALU_DEP_1)
	v_lshl_or_b32 v2, s3, 10, v0
	s_mov_b32 s3, exec_lo
	v_cmpx_gt_i64_e64 s[4:5], v[2:3]
	s_cbranch_execz .LBB27_9
; %bb.4:
	v_cmp_lt_i64_e64 s3, s[8:9], 1
	s_and_b32 vcc_lo, exec_lo, s3
	s_cbranch_vccnz .LBB27_9
; %bb.5:
	s_load_b256 s[12:19], s[0:1], 0x28
	v_lshlrev_b64_e32 v[0:1], 1, v[2:3]
	s_mov_b32 s3, 0
	s_wait_xcnt 0x0
	s_mov_b32 s1, s3
	s_wait_kmcnt 0x0
	s_delay_alu instid0(VALU_DEP_1)
	v_add_nc_u64_e32 v[4:5], s[16:17], v[0:1]
	v_add_nc_u64_e32 v[0:1], s[14:15], v[0:1]
	v_lshl_add_u64 v[2:3], v[2:3], 3, s[12:13]
                                        ; implicit-def: $sgpr12
	global_load_u16 v4, v[4:5], off
	s_wait_loadcnt 0x0
	v_cvt_f32_f16_e32 v4, v4
	s_delay_alu instid0(VALU_DEP_1)
	v_mul_f32_e32 v6, s10, v4
	s_lshl_b64 s[10:11], s[4:5], 3
	s_lshl_b64 s[4:5], s[4:5], 1
	s_branch .LBB27_7
.LBB27_6:                               ;   in Loop: Header=BB27_7 Depth=1
	s_wait_xcnt 0x0
	s_or_b32 exec_lo, exec_lo, s0
	s_delay_alu instid0(SALU_CYCLE_1) | instskip(NEXT) | instid1(SALU_CYCLE_1)
	s_and_b32 s0, exec_lo, s12
	s_or_b32 s1, s0, s1
	s_delay_alu instid0(SALU_CYCLE_1)
	s_and_not1_b32 exec_lo, exec_lo, s1
	s_cbranch_execz .LBB27_9
.LBB27_7:                               ; =>This Inner Loop Header: Depth=1
	global_load_b64 v[4:5], v[2:3], off th:TH_LOAD_NT
	s_or_b32 s12, s12, exec_lo
	s_wait_loadcnt 0x0
	v_sub_nc_u64_e64 v[4:5], v[4:5], s[2:3]
	s_delay_alu instid0(VALU_DEP_1)
	v_cmp_lt_i64_e32 vcc_lo, -1, v[4:5]
	v_cmp_gt_i64_e64 s0, s[6:7], v[4:5]
	s_and_b32 s13, vcc_lo, s0
	s_wait_xcnt 0x0
	s_and_saveexec_b32 s0, s13
	s_cbranch_execz .LBB27_6
; %bb.8:                                ;   in Loop: Header=BB27_7 Depth=1
	global_load_u16 v7, v[0:1], off
	v_lshl_add_u64 v[4:5], v[4:5], 2, s[18:19]
	s_add_nc_u64 s[8:9], s[8:9], -1
	v_add_nc_u64_e32 v[2:3], s[10:11], v[2:3]
	s_cmp_eq_u64 s[8:9], 0
	s_wait_xcnt 0x0
	v_add_nc_u64_e32 v[0:1], s[4:5], v[0:1]
	s_cselect_b32 s13, -1, 0
	s_and_not1_b32 s12, s12, exec_lo
	s_and_b32 s13, s13, exec_lo
	s_delay_alu instid0(SALU_CYCLE_1) | instskip(SKIP_2) | instid1(VALU_DEP_1)
	s_or_b32 s12, s12, s13
	s_wait_loadcnt 0x0
	v_cvt_f32_f16_e32 v7, v7
	v_mul_f32_e32 v7, v6, v7
	global_atomic_add_f32 v[4:5], v7, off scope:SCOPE_DEV
	s_branch .LBB27_6
.LBB27_9:
	s_endpgm
	.section	.rodata,"a",@progbits
	.p2align	6, 0x0
	.amdhsa_kernel _ZN9rocsparseL13ellmvt_kernelILj1024ElDF16_DF16_ffEEv20rocsparse_operation_T0_S2_S2_NS_24const_host_device_scalarIT4_EEPKS2_PKT1_PKT2_PT3_21rocsparse_index_base_b
		.amdhsa_group_segment_fixed_size 0
		.amdhsa_private_segment_fixed_size 0
		.amdhsa_kernarg_size 80
		.amdhsa_user_sgpr_count 2
		.amdhsa_user_sgpr_dispatch_ptr 0
		.amdhsa_user_sgpr_queue_ptr 0
		.amdhsa_user_sgpr_kernarg_segment_ptr 1
		.amdhsa_user_sgpr_dispatch_id 0
		.amdhsa_user_sgpr_kernarg_preload_length 0
		.amdhsa_user_sgpr_kernarg_preload_offset 0
		.amdhsa_user_sgpr_private_segment_size 0
		.amdhsa_wavefront_size32 1
		.amdhsa_uses_dynamic_stack 0
		.amdhsa_enable_private_segment 0
		.amdhsa_system_sgpr_workgroup_id_x 1
		.amdhsa_system_sgpr_workgroup_id_y 0
		.amdhsa_system_sgpr_workgroup_id_z 0
		.amdhsa_system_sgpr_workgroup_info 0
		.amdhsa_system_vgpr_workitem_id 0
		.amdhsa_next_free_vgpr 8
		.amdhsa_next_free_sgpr 20
		.amdhsa_named_barrier_count 0
		.amdhsa_reserve_vcc 1
		.amdhsa_float_round_mode_32 0
		.amdhsa_float_round_mode_16_64 0
		.amdhsa_float_denorm_mode_32 3
		.amdhsa_float_denorm_mode_16_64 3
		.amdhsa_fp16_overflow 0
		.amdhsa_memory_ordered 1
		.amdhsa_forward_progress 1
		.amdhsa_inst_pref_size 4
		.amdhsa_round_robin_scheduling 0
		.amdhsa_exception_fp_ieee_invalid_op 0
		.amdhsa_exception_fp_denorm_src 0
		.amdhsa_exception_fp_ieee_div_zero 0
		.amdhsa_exception_fp_ieee_overflow 0
		.amdhsa_exception_fp_ieee_underflow 0
		.amdhsa_exception_fp_ieee_inexact 0
		.amdhsa_exception_int_div_zero 0
	.end_amdhsa_kernel
	.section	.text._ZN9rocsparseL13ellmvt_kernelILj1024ElDF16_DF16_ffEEv20rocsparse_operation_T0_S2_S2_NS_24const_host_device_scalarIT4_EEPKS2_PKT1_PKT2_PT3_21rocsparse_index_base_b,"axG",@progbits,_ZN9rocsparseL13ellmvt_kernelILj1024ElDF16_DF16_ffEEv20rocsparse_operation_T0_S2_S2_NS_24const_host_device_scalarIT4_EEPKS2_PKT1_PKT2_PT3_21rocsparse_index_base_b,comdat
.Lfunc_end27:
	.size	_ZN9rocsparseL13ellmvt_kernelILj1024ElDF16_DF16_ffEEv20rocsparse_operation_T0_S2_S2_NS_24const_host_device_scalarIT4_EEPKS2_PKT1_PKT2_PT3_21rocsparse_index_base_b, .Lfunc_end27-_ZN9rocsparseL13ellmvt_kernelILj1024ElDF16_DF16_ffEEv20rocsparse_operation_T0_S2_S2_NS_24const_host_device_scalarIT4_EEPKS2_PKT1_PKT2_PT3_21rocsparse_index_base_b
                                        ; -- End function
	.set _ZN9rocsparseL13ellmvt_kernelILj1024ElDF16_DF16_ffEEv20rocsparse_operation_T0_S2_S2_NS_24const_host_device_scalarIT4_EEPKS2_PKT1_PKT2_PT3_21rocsparse_index_base_b.num_vgpr, 8
	.set _ZN9rocsparseL13ellmvt_kernelILj1024ElDF16_DF16_ffEEv20rocsparse_operation_T0_S2_S2_NS_24const_host_device_scalarIT4_EEPKS2_PKT1_PKT2_PT3_21rocsparse_index_base_b.num_agpr, 0
	.set _ZN9rocsparseL13ellmvt_kernelILj1024ElDF16_DF16_ffEEv20rocsparse_operation_T0_S2_S2_NS_24const_host_device_scalarIT4_EEPKS2_PKT1_PKT2_PT3_21rocsparse_index_base_b.numbered_sgpr, 20
	.set _ZN9rocsparseL13ellmvt_kernelILj1024ElDF16_DF16_ffEEv20rocsparse_operation_T0_S2_S2_NS_24const_host_device_scalarIT4_EEPKS2_PKT1_PKT2_PT3_21rocsparse_index_base_b.num_named_barrier, 0
	.set _ZN9rocsparseL13ellmvt_kernelILj1024ElDF16_DF16_ffEEv20rocsparse_operation_T0_S2_S2_NS_24const_host_device_scalarIT4_EEPKS2_PKT1_PKT2_PT3_21rocsparse_index_base_b.private_seg_size, 0
	.set _ZN9rocsparseL13ellmvt_kernelILj1024ElDF16_DF16_ffEEv20rocsparse_operation_T0_S2_S2_NS_24const_host_device_scalarIT4_EEPKS2_PKT1_PKT2_PT3_21rocsparse_index_base_b.uses_vcc, 1
	.set _ZN9rocsparseL13ellmvt_kernelILj1024ElDF16_DF16_ffEEv20rocsparse_operation_T0_S2_S2_NS_24const_host_device_scalarIT4_EEPKS2_PKT1_PKT2_PT3_21rocsparse_index_base_b.uses_flat_scratch, 0
	.set _ZN9rocsparseL13ellmvt_kernelILj1024ElDF16_DF16_ffEEv20rocsparse_operation_T0_S2_S2_NS_24const_host_device_scalarIT4_EEPKS2_PKT1_PKT2_PT3_21rocsparse_index_base_b.has_dyn_sized_stack, 0
	.set _ZN9rocsparseL13ellmvt_kernelILj1024ElDF16_DF16_ffEEv20rocsparse_operation_T0_S2_S2_NS_24const_host_device_scalarIT4_EEPKS2_PKT1_PKT2_PT3_21rocsparse_index_base_b.has_recursion, 0
	.set _ZN9rocsparseL13ellmvt_kernelILj1024ElDF16_DF16_ffEEv20rocsparse_operation_T0_S2_S2_NS_24const_host_device_scalarIT4_EEPKS2_PKT1_PKT2_PT3_21rocsparse_index_base_b.has_indirect_call, 0
	.section	.AMDGPU.csdata,"",@progbits
; Kernel info:
; codeLenInByte = 420
; TotalNumSgprs: 22
; NumVgprs: 8
; ScratchSize: 0
; MemoryBound: 0
; FloatMode: 240
; IeeeMode: 1
; LDSByteSize: 0 bytes/workgroup (compile time only)
; SGPRBlocks: 0
; VGPRBlocks: 0
; NumSGPRsForWavesPerEU: 22
; NumVGPRsForWavesPerEU: 8
; NamedBarCnt: 0
; Occupancy: 16
; WaveLimiterHint : 1
; COMPUTE_PGM_RSRC2:SCRATCH_EN: 0
; COMPUTE_PGM_RSRC2:USER_SGPR: 2
; COMPUTE_PGM_RSRC2:TRAP_HANDLER: 0
; COMPUTE_PGM_RSRC2:TGID_X_EN: 1
; COMPUTE_PGM_RSRC2:TGID_Y_EN: 0
; COMPUTE_PGM_RSRC2:TGID_Z_EN: 0
; COMPUTE_PGM_RSRC2:TIDIG_COMP_CNT: 0
	.section	.text._ZN9rocsparseL13ellmvn_kernelILj512Ei18rocsparse_bfloat16S1_ffEEvT0_S2_S2_NS_24const_host_device_scalarIT4_EEPKS2_PKT1_PKT2_S5_PT3_21rocsparse_index_base_b,"axG",@progbits,_ZN9rocsparseL13ellmvn_kernelILj512Ei18rocsparse_bfloat16S1_ffEEvT0_S2_S2_NS_24const_host_device_scalarIT4_EEPKS2_PKT1_PKT2_S5_PT3_21rocsparse_index_base_b,comdat
	.globl	_ZN9rocsparseL13ellmvn_kernelILj512Ei18rocsparse_bfloat16S1_ffEEvT0_S2_S2_NS_24const_host_device_scalarIT4_EEPKS2_PKT1_PKT2_S5_PT3_21rocsparse_index_base_b ; -- Begin function _ZN9rocsparseL13ellmvn_kernelILj512Ei18rocsparse_bfloat16S1_ffEEvT0_S2_S2_NS_24const_host_device_scalarIT4_EEPKS2_PKT1_PKT2_S5_PT3_21rocsparse_index_base_b
	.p2align	8
	.type	_ZN9rocsparseL13ellmvn_kernelILj512Ei18rocsparse_bfloat16S1_ffEEvT0_S2_S2_NS_24const_host_device_scalarIT4_EEPKS2_PKT1_PKT2_S5_PT3_21rocsparse_index_base_b,@function
_ZN9rocsparseL13ellmvn_kernelILj512Ei18rocsparse_bfloat16S1_ffEEvT0_S2_S2_NS_24const_host_device_scalarIT4_EEPKS2_PKT1_PKT2_S5_PT3_21rocsparse_index_base_b: ; @_ZN9rocsparseL13ellmvn_kernelILj512Ei18rocsparse_bfloat16S1_ffEEvT0_S2_S2_NS_24const_host_device_scalarIT4_EEPKS2_PKT1_PKT2_S5_PT3_21rocsparse_index_base_b
; %bb.0:
	s_clause 0x2
	s_load_b64 s[10:11], s[0:1], 0x40
	s_load_b64 s[8:9], s[0:1], 0x10
	;; [unrolled: 1-line block ×3, first 2 shown]
	s_wait_kmcnt 0x0
	s_bitcmp1_b32 s11, 0
	s_cselect_b32 s4, -1, 0
	s_delay_alu instid0(SALU_CYCLE_1)
	s_and_b32 vcc_lo, exec_lo, s4
	s_xor_b32 s4, s4, -1
	s_cbranch_vccnz .LBB28_2
; %bb.1:
	s_load_b32 s8, s[8:9], 0x0
.LBB28_2:
	s_and_not1_b32 vcc_lo, exec_lo, s4
	s_cbranch_vccnz .LBB28_4
; %bb.3:
	s_load_b32 s2, s[2:3], 0x0
.LBB28_4:
	s_wait_kmcnt 0x0
	s_cmp_neq_f32 s8, 0
	s_cselect_b32 s3, -1, 0
	s_cmp_neq_f32 s2, 1.0
	s_cselect_b32 s4, -1, 0
	s_delay_alu instid0(SALU_CYCLE_1) | instskip(NEXT) | instid1(SALU_CYCLE_1)
	s_or_b32 s3, s3, s4
	s_and_not1_b32 vcc_lo, exec_lo, s3
	s_cbranch_vccnz .LBB28_14
; %bb.5:
	s_load_b96 s[4:6], s[0:1], 0x0
	s_bfe_u32 s3, ttmp6, 0x4000c
	s_and_b32 s7, ttmp6, 15
	s_add_co_i32 s3, s3, 1
	s_getreg_b32 s9, hwreg(HW_REG_IB_STS2, 6, 4)
	s_mul_i32 s3, ttmp9, s3
	s_delay_alu instid0(SALU_CYCLE_1) | instskip(SKIP_2) | instid1(SALU_CYCLE_1)
	s_add_co_i32 s7, s7, s3
	s_cmp_eq_u32 s9, 0
	s_cselect_b32 s3, ttmp9, s7
	v_lshl_or_b32 v0, s3, 9, v0
	s_mov_b32 s3, exec_lo
	s_wait_kmcnt 0x0
	s_delay_alu instid0(VALU_DEP_1)
	v_cmpx_gt_i32_e64 s4, v0
	s_cbranch_execz .LBB28_14
; %bb.6:
	s_load_b64 s[12:13], s[0:1], 0x38
	s_cmp_lt_i32 s6, 1
	s_cbranch_scc1 .LBB28_15
; %bb.7:
	s_clause 0x1
	s_load_b128 s[16:19], s[0:1], 0x18
	s_load_b64 s[14:15], s[0:1], 0x28
	v_dual_mov_b32 v6, 0 :: v_dual_ashrrev_i32 v1, 31, v0
	s_add_co_i32 s3, s6, -1
	s_wait_xcnt 0x0
	s_ashr_i32 s1, s4, 31
	s_mov_b32 s0, s4
	s_delay_alu instid0(SALU_CYCLE_1)
	s_lshl_b64 s[6:7], s[0:1], 2
	s_wait_kmcnt 0x0
	v_lshl_add_u64 v[2:3], v[0:1], 2, s[16:17]
	v_lshl_add_u64 v[4:5], v[0:1], 1, s[18:19]
	v_mov_b32_e32 v1, s3
	s_lshl_b64 s[16:17], s[0:1], 1
	s_mov_b32 s1, 0
	s_branch .LBB28_9
.LBB28_8:                               ;   in Loop: Header=BB28_9 Depth=1
	s_or_b32 exec_lo, exec_lo, s3
	v_sub_co_u32 v1, s3, v1, 1
	v_add_nc_u64_e32 v[2:3], s[6:7], v[2:3]
	v_add_nc_u64_e32 v[4:5], s[16:17], v[4:5]
	s_or_b32 s0, s0, s3
	s_delay_alu instid0(SALU_CYCLE_1) | instskip(NEXT) | instid1(SALU_CYCLE_1)
	s_and_b32 s0, exec_lo, s0
	s_or_b32 s1, s0, s1
	s_delay_alu instid0(SALU_CYCLE_1)
	s_and_not1_b32 exec_lo, exec_lo, s1
	s_cbranch_execz .LBB28_11
.LBB28_9:                               ; =>This Inner Loop Header: Depth=1
	global_load_b32 v7, v[2:3], off th:TH_LOAD_NT
	s_wait_loadcnt 0x0
	v_subrev_nc_u32_e32 v7, s10, v7
	s_delay_alu instid0(VALU_DEP_1) | instskip(SKIP_2) | instid1(SALU_CYCLE_1)
	v_cmp_gt_i32_e32 vcc_lo, 0, v7
	v_cmp_le_i32_e64 s0, s5, v7
	s_or_b32 s0, vcc_lo, s0
	s_xor_b32 s4, s0, -1
	s_delay_alu instid0(SALU_CYCLE_1)
	s_and_saveexec_b32 s3, s4
	s_cbranch_execz .LBB28_8
; %bb.10:                               ;   in Loop: Header=BB28_9 Depth=1
	global_load_u16 v8, v[4:5], off
	global_load_u16 v9, v7, s[14:15] scale_offset
	s_wait_loadcnt 0x0
	v_fma_mix_f32_bf16 v6, v8, v9, v6 op_sel_hi:[1,1,0]
	s_branch .LBB28_8
.LBB28_11:
	s_or_b32 exec_lo, exec_lo, s1
	v_mul_f32_e32 v1, s8, v6
	s_cmp_eq_f32 s2, 0
	s_mov_b32 s0, 0
	s_cbranch_scc0 .LBB28_16
.LBB28_12:
	s_wait_kmcnt 0x0
	global_store_b32 v0, v1, s[12:13] scale_offset th:TH_STORE_NT
	s_and_not1_b32 vcc_lo, exec_lo, s0
	s_cbranch_vccnz .LBB28_14
.LBB28_13:
	s_wait_kmcnt 0x0
	global_load_b32 v2, v0, s[12:13] scale_offset th:TH_LOAD_NT
	s_wait_loadcnt 0x0
	s_wait_xcnt 0x1
	v_fmac_f32_e32 v1, s2, v2
	global_store_b32 v0, v1, s[12:13] scale_offset th:TH_STORE_NT
.LBB28_14:
	s_endpgm
.LBB28_15:
	v_mov_b32_e32 v6, 0
	s_delay_alu instid0(VALU_DEP_1)
	v_mul_f32_e32 v1, s8, v6
	s_cmp_eq_f32 s2, 0
	s_wait_xcnt 0x0
	s_mov_b32 s0, 0
	s_cbranch_scc1 .LBB28_12
.LBB28_16:
	s_branch .LBB28_13
	.section	.rodata,"a",@progbits
	.p2align	6, 0x0
	.amdhsa_kernel _ZN9rocsparseL13ellmvn_kernelILj512Ei18rocsparse_bfloat16S1_ffEEvT0_S2_S2_NS_24const_host_device_scalarIT4_EEPKS2_PKT1_PKT2_S5_PT3_21rocsparse_index_base_b
		.amdhsa_group_segment_fixed_size 0
		.amdhsa_private_segment_fixed_size 0
		.amdhsa_kernarg_size 72
		.amdhsa_user_sgpr_count 2
		.amdhsa_user_sgpr_dispatch_ptr 0
		.amdhsa_user_sgpr_queue_ptr 0
		.amdhsa_user_sgpr_kernarg_segment_ptr 1
		.amdhsa_user_sgpr_dispatch_id 0
		.amdhsa_user_sgpr_kernarg_preload_length 0
		.amdhsa_user_sgpr_kernarg_preload_offset 0
		.amdhsa_user_sgpr_private_segment_size 0
		.amdhsa_wavefront_size32 1
		.amdhsa_uses_dynamic_stack 0
		.amdhsa_enable_private_segment 0
		.amdhsa_system_sgpr_workgroup_id_x 1
		.amdhsa_system_sgpr_workgroup_id_y 0
		.amdhsa_system_sgpr_workgroup_id_z 0
		.amdhsa_system_sgpr_workgroup_info 0
		.amdhsa_system_vgpr_workitem_id 0
		.amdhsa_next_free_vgpr 10
		.amdhsa_next_free_sgpr 20
		.amdhsa_named_barrier_count 0
		.amdhsa_reserve_vcc 1
		.amdhsa_float_round_mode_32 0
		.amdhsa_float_round_mode_16_64 0
		.amdhsa_float_denorm_mode_32 3
		.amdhsa_float_denorm_mode_16_64 3
		.amdhsa_fp16_overflow 0
		.amdhsa_memory_ordered 1
		.amdhsa_forward_progress 1
		.amdhsa_inst_pref_size 5
		.amdhsa_round_robin_scheduling 0
		.amdhsa_exception_fp_ieee_invalid_op 0
		.amdhsa_exception_fp_denorm_src 0
		.amdhsa_exception_fp_ieee_div_zero 0
		.amdhsa_exception_fp_ieee_overflow 0
		.amdhsa_exception_fp_ieee_underflow 0
		.amdhsa_exception_fp_ieee_inexact 0
		.amdhsa_exception_int_div_zero 0
	.end_amdhsa_kernel
	.section	.text._ZN9rocsparseL13ellmvn_kernelILj512Ei18rocsparse_bfloat16S1_ffEEvT0_S2_S2_NS_24const_host_device_scalarIT4_EEPKS2_PKT1_PKT2_S5_PT3_21rocsparse_index_base_b,"axG",@progbits,_ZN9rocsparseL13ellmvn_kernelILj512Ei18rocsparse_bfloat16S1_ffEEvT0_S2_S2_NS_24const_host_device_scalarIT4_EEPKS2_PKT1_PKT2_S5_PT3_21rocsparse_index_base_b,comdat
.Lfunc_end28:
	.size	_ZN9rocsparseL13ellmvn_kernelILj512Ei18rocsparse_bfloat16S1_ffEEvT0_S2_S2_NS_24const_host_device_scalarIT4_EEPKS2_PKT1_PKT2_S5_PT3_21rocsparse_index_base_b, .Lfunc_end28-_ZN9rocsparseL13ellmvn_kernelILj512Ei18rocsparse_bfloat16S1_ffEEvT0_S2_S2_NS_24const_host_device_scalarIT4_EEPKS2_PKT1_PKT2_S5_PT3_21rocsparse_index_base_b
                                        ; -- End function
	.set _ZN9rocsparseL13ellmvn_kernelILj512Ei18rocsparse_bfloat16S1_ffEEvT0_S2_S2_NS_24const_host_device_scalarIT4_EEPKS2_PKT1_PKT2_S5_PT3_21rocsparse_index_base_b.num_vgpr, 10
	.set _ZN9rocsparseL13ellmvn_kernelILj512Ei18rocsparse_bfloat16S1_ffEEvT0_S2_S2_NS_24const_host_device_scalarIT4_EEPKS2_PKT1_PKT2_S5_PT3_21rocsparse_index_base_b.num_agpr, 0
	.set _ZN9rocsparseL13ellmvn_kernelILj512Ei18rocsparse_bfloat16S1_ffEEvT0_S2_S2_NS_24const_host_device_scalarIT4_EEPKS2_PKT1_PKT2_S5_PT3_21rocsparse_index_base_b.numbered_sgpr, 20
	.set _ZN9rocsparseL13ellmvn_kernelILj512Ei18rocsparse_bfloat16S1_ffEEvT0_S2_S2_NS_24const_host_device_scalarIT4_EEPKS2_PKT1_PKT2_S5_PT3_21rocsparse_index_base_b.num_named_barrier, 0
	.set _ZN9rocsparseL13ellmvn_kernelILj512Ei18rocsparse_bfloat16S1_ffEEvT0_S2_S2_NS_24const_host_device_scalarIT4_EEPKS2_PKT1_PKT2_S5_PT3_21rocsparse_index_base_b.private_seg_size, 0
	.set _ZN9rocsparseL13ellmvn_kernelILj512Ei18rocsparse_bfloat16S1_ffEEvT0_S2_S2_NS_24const_host_device_scalarIT4_EEPKS2_PKT1_PKT2_S5_PT3_21rocsparse_index_base_b.uses_vcc, 1
	.set _ZN9rocsparseL13ellmvn_kernelILj512Ei18rocsparse_bfloat16S1_ffEEvT0_S2_S2_NS_24const_host_device_scalarIT4_EEPKS2_PKT1_PKT2_S5_PT3_21rocsparse_index_base_b.uses_flat_scratch, 0
	.set _ZN9rocsparseL13ellmvn_kernelILj512Ei18rocsparse_bfloat16S1_ffEEvT0_S2_S2_NS_24const_host_device_scalarIT4_EEPKS2_PKT1_PKT2_S5_PT3_21rocsparse_index_base_b.has_dyn_sized_stack, 0
	.set _ZN9rocsparseL13ellmvn_kernelILj512Ei18rocsparse_bfloat16S1_ffEEvT0_S2_S2_NS_24const_host_device_scalarIT4_EEPKS2_PKT1_PKT2_S5_PT3_21rocsparse_index_base_b.has_recursion, 0
	.set _ZN9rocsparseL13ellmvn_kernelILj512Ei18rocsparse_bfloat16S1_ffEEvT0_S2_S2_NS_24const_host_device_scalarIT4_EEPKS2_PKT1_PKT2_S5_PT3_21rocsparse_index_base_b.has_indirect_call, 0
	.section	.AMDGPU.csdata,"",@progbits
; Kernel info:
; codeLenInByte = 564
; TotalNumSgprs: 22
; NumVgprs: 10
; ScratchSize: 0
; MemoryBound: 0
; FloatMode: 240
; IeeeMode: 1
; LDSByteSize: 0 bytes/workgroup (compile time only)
; SGPRBlocks: 0
; VGPRBlocks: 0
; NumSGPRsForWavesPerEU: 22
; NumVGPRsForWavesPerEU: 10
; NamedBarCnt: 0
; Occupancy: 16
; WaveLimiterHint : 1
; COMPUTE_PGM_RSRC2:SCRATCH_EN: 0
; COMPUTE_PGM_RSRC2:USER_SGPR: 2
; COMPUTE_PGM_RSRC2:TRAP_HANDLER: 0
; COMPUTE_PGM_RSRC2:TGID_X_EN: 1
; COMPUTE_PGM_RSRC2:TGID_Y_EN: 0
; COMPUTE_PGM_RSRC2:TGID_Z_EN: 0
; COMPUTE_PGM_RSRC2:TIDIG_COMP_CNT: 0
	.section	.text._ZN9rocsparseL13ellmvt_kernelILj1024Ei18rocsparse_bfloat16S1_ffEEv20rocsparse_operation_T0_S3_S3_NS_24const_host_device_scalarIT4_EEPKS3_PKT1_PKT2_PT3_21rocsparse_index_base_b,"axG",@progbits,_ZN9rocsparseL13ellmvt_kernelILj1024Ei18rocsparse_bfloat16S1_ffEEv20rocsparse_operation_T0_S3_S3_NS_24const_host_device_scalarIT4_EEPKS3_PKT1_PKT2_PT3_21rocsparse_index_base_b,comdat
	.globl	_ZN9rocsparseL13ellmvt_kernelILj1024Ei18rocsparse_bfloat16S1_ffEEv20rocsparse_operation_T0_S3_S3_NS_24const_host_device_scalarIT4_EEPKS3_PKT1_PKT2_PT3_21rocsparse_index_base_b ; -- Begin function _ZN9rocsparseL13ellmvt_kernelILj1024Ei18rocsparse_bfloat16S1_ffEEv20rocsparse_operation_T0_S3_S3_NS_24const_host_device_scalarIT4_EEPKS3_PKT1_PKT2_PT3_21rocsparse_index_base_b
	.p2align	8
	.type	_ZN9rocsparseL13ellmvt_kernelILj1024Ei18rocsparse_bfloat16S1_ffEEv20rocsparse_operation_T0_S3_S3_NS_24const_host_device_scalarIT4_EEPKS3_PKT1_PKT2_PT3_21rocsparse_index_base_b,@function
_ZN9rocsparseL13ellmvt_kernelILj1024Ei18rocsparse_bfloat16S1_ffEEv20rocsparse_operation_T0_S3_S3_NS_24const_host_device_scalarIT4_EEPKS3_PKT1_PKT2_PT3_21rocsparse_index_base_b: ; @_ZN9rocsparseL13ellmvt_kernelILj1024Ei18rocsparse_bfloat16S1_ffEEv20rocsparse_operation_T0_S3_S3_NS_24const_host_device_scalarIT4_EEPKS3_PKT1_PKT2_PT3_21rocsparse_index_base_b
; %bb.0:
	s_clause 0x1
	s_load_b64 s[2:3], s[0:1], 0x38
	s_load_b64 s[16:17], s[0:1], 0x10
	s_wait_kmcnt 0x0
	s_bitcmp1_b32 s3, 0
	s_cselect_b32 s3, -1, 0
	s_delay_alu instid0(SALU_CYCLE_1)
	s_and_b32 vcc_lo, exec_lo, s3
	s_cbranch_vccnz .LBB29_2
; %bb.1:
	s_load_b32 s16, s[16:17], 0x0
.LBB29_2:
	s_wait_kmcnt 0x0
	s_cmp_eq_f32 s16, 0
	s_cbranch_scc1 .LBB29_9
; %bb.3:
	s_load_b96 s[12:14], s[0:1], 0x4
	s_bfe_u32 s3, ttmp6, 0x4000c
	s_and_b32 s4, ttmp6, 15
	s_add_co_i32 s3, s3, 1
	s_getreg_b32 s5, hwreg(HW_REG_IB_STS2, 6, 4)
	s_mul_i32 s3, ttmp9, s3
	s_delay_alu instid0(SALU_CYCLE_1) | instskip(SKIP_2) | instid1(SALU_CYCLE_1)
	s_add_co_i32 s4, s4, s3
	s_cmp_eq_u32 s5, 0
	s_cselect_b32 s3, ttmp9, s4
	v_lshl_or_b32 v2, s3, 10, v0
	s_mov_b32 s3, exec_lo
	s_wait_kmcnt 0x0
	s_delay_alu instid0(VALU_DEP_1)
	v_cmpx_gt_i32_e64 s12, v2
	s_cbranch_execz .LBB29_9
; %bb.4:
	s_cmp_lt_i32 s14, 1
	s_cbranch_scc1 .LBB29_9
; %bb.5:
	s_load_b256 s[4:11], s[0:1], 0x18
	s_wait_xcnt 0x0
	s_ashr_i32 s1, s12, 31
	s_mov_b32 s0, s12
                                        ; implicit-def: $sgpr3
	s_wait_kmcnt 0x0
	global_load_u16 v0, v2, s[8:9] scale_offset
	s_wait_loadcnt 0x0
	v_dual_ashrrev_i32 v3, 31, v2 :: v_dual_lshlrev_b32 v4, 16, v0
	s_delay_alu instid0(VALU_DEP_1)
	v_lshl_add_u64 v[0:1], v[2:3], 2, s[4:5]
	v_lshl_add_u64 v[2:3], v[2:3], 1, s[6:7]
	s_lshl_b64 s[4:5], s[0:1], 2
	s_lshl_b64 s[6:7], s[0:1], 1
	v_mul_f32_e32 v4, s16, v4
	s_mov_b32 s1, 0
	s_branch .LBB29_7
.LBB29_6:                               ;   in Loop: Header=BB29_7 Depth=1
	s_wait_xcnt 0x0
	s_or_b32 exec_lo, exec_lo, s0
	s_delay_alu instid0(SALU_CYCLE_1) | instskip(NEXT) | instid1(SALU_CYCLE_1)
	s_and_b32 s0, exec_lo, s3
	s_or_b32 s1, s0, s1
	s_delay_alu instid0(SALU_CYCLE_1)
	s_and_not1_b32 exec_lo, exec_lo, s1
	s_cbranch_execz .LBB29_9
.LBB29_7:                               ; =>This Inner Loop Header: Depth=1
	global_load_b32 v5, v[0:1], off th:TH_LOAD_NT
	s_or_b32 s3, s3, exec_lo
	s_wait_loadcnt 0x0
	v_subrev_nc_u32_e32 v5, s2, v5
	s_delay_alu instid0(VALU_DEP_1)
	v_cmp_lt_i32_e32 vcc_lo, -1, v5
	v_cmp_gt_i32_e64 s0, s13, v5
	s_and_b32 s8, vcc_lo, s0
	s_wait_xcnt 0x0
	s_and_saveexec_b32 s0, s8
	s_cbranch_execz .LBB29_6
; %bb.8:                                ;   in Loop: Header=BB29_7 Depth=1
	global_load_u16 v6, v[2:3], off
	s_add_co_i32 s14, s14, -1
	v_add_nc_u64_e32 v[0:1], s[4:5], v[0:1]
	s_cmp_eq_u32 s14, 0
	s_wait_xcnt 0x0
	v_add_nc_u64_e32 v[2:3], s[6:7], v[2:3]
	s_cselect_b32 s8, -1, 0
	s_and_not1_b32 s3, s3, exec_lo
	s_and_b32 s8, s8, exec_lo
	s_delay_alu instid0(SALU_CYCLE_1) | instskip(SKIP_2) | instid1(VALU_DEP_1)
	s_or_b32 s3, s3, s8
	s_wait_loadcnt 0x0
	v_lshlrev_b32_e32 v6, 16, v6
	v_mul_f32_e32 v6, v4, v6
	global_atomic_add_f32 v5, v6, s[10:11] scale_offset scope:SCOPE_DEV
	s_branch .LBB29_6
.LBB29_9:
	s_endpgm
	.section	.rodata,"a",@progbits
	.p2align	6, 0x0
	.amdhsa_kernel _ZN9rocsparseL13ellmvt_kernelILj1024Ei18rocsparse_bfloat16S1_ffEEv20rocsparse_operation_T0_S3_S3_NS_24const_host_device_scalarIT4_EEPKS3_PKT1_PKT2_PT3_21rocsparse_index_base_b
		.amdhsa_group_segment_fixed_size 0
		.amdhsa_private_segment_fixed_size 0
		.amdhsa_kernarg_size 64
		.amdhsa_user_sgpr_count 2
		.amdhsa_user_sgpr_dispatch_ptr 0
		.amdhsa_user_sgpr_queue_ptr 0
		.amdhsa_user_sgpr_kernarg_segment_ptr 1
		.amdhsa_user_sgpr_dispatch_id 0
		.amdhsa_user_sgpr_kernarg_preload_length 0
		.amdhsa_user_sgpr_kernarg_preload_offset 0
		.amdhsa_user_sgpr_private_segment_size 0
		.amdhsa_wavefront_size32 1
		.amdhsa_uses_dynamic_stack 0
		.amdhsa_enable_private_segment 0
		.amdhsa_system_sgpr_workgroup_id_x 1
		.amdhsa_system_sgpr_workgroup_id_y 0
		.amdhsa_system_sgpr_workgroup_id_z 0
		.amdhsa_system_sgpr_workgroup_info 0
		.amdhsa_system_vgpr_workitem_id 0
		.amdhsa_next_free_vgpr 7
		.amdhsa_next_free_sgpr 18
		.amdhsa_named_barrier_count 0
		.amdhsa_reserve_vcc 1
		.amdhsa_float_round_mode_32 0
		.amdhsa_float_round_mode_16_64 0
		.amdhsa_float_denorm_mode_32 3
		.amdhsa_float_denorm_mode_16_64 3
		.amdhsa_fp16_overflow 0
		.amdhsa_memory_ordered 1
		.amdhsa_forward_progress 1
		.amdhsa_inst_pref_size 4
		.amdhsa_round_robin_scheduling 0
		.amdhsa_exception_fp_ieee_invalid_op 0
		.amdhsa_exception_fp_denorm_src 0
		.amdhsa_exception_fp_ieee_div_zero 0
		.amdhsa_exception_fp_ieee_overflow 0
		.amdhsa_exception_fp_ieee_underflow 0
		.amdhsa_exception_fp_ieee_inexact 0
		.amdhsa_exception_int_div_zero 0
	.end_amdhsa_kernel
	.section	.text._ZN9rocsparseL13ellmvt_kernelILj1024Ei18rocsparse_bfloat16S1_ffEEv20rocsparse_operation_T0_S3_S3_NS_24const_host_device_scalarIT4_EEPKS3_PKT1_PKT2_PT3_21rocsparse_index_base_b,"axG",@progbits,_ZN9rocsparseL13ellmvt_kernelILj1024Ei18rocsparse_bfloat16S1_ffEEv20rocsparse_operation_T0_S3_S3_NS_24const_host_device_scalarIT4_EEPKS3_PKT1_PKT2_PT3_21rocsparse_index_base_b,comdat
.Lfunc_end29:
	.size	_ZN9rocsparseL13ellmvt_kernelILj1024Ei18rocsparse_bfloat16S1_ffEEv20rocsparse_operation_T0_S3_S3_NS_24const_host_device_scalarIT4_EEPKS3_PKT1_PKT2_PT3_21rocsparse_index_base_b, .Lfunc_end29-_ZN9rocsparseL13ellmvt_kernelILj1024Ei18rocsparse_bfloat16S1_ffEEv20rocsparse_operation_T0_S3_S3_NS_24const_host_device_scalarIT4_EEPKS3_PKT1_PKT2_PT3_21rocsparse_index_base_b
                                        ; -- End function
	.set _ZN9rocsparseL13ellmvt_kernelILj1024Ei18rocsparse_bfloat16S1_ffEEv20rocsparse_operation_T0_S3_S3_NS_24const_host_device_scalarIT4_EEPKS3_PKT1_PKT2_PT3_21rocsparse_index_base_b.num_vgpr, 7
	.set _ZN9rocsparseL13ellmvt_kernelILj1024Ei18rocsparse_bfloat16S1_ffEEv20rocsparse_operation_T0_S3_S3_NS_24const_host_device_scalarIT4_EEPKS3_PKT1_PKT2_PT3_21rocsparse_index_base_b.num_agpr, 0
	.set _ZN9rocsparseL13ellmvt_kernelILj1024Ei18rocsparse_bfloat16S1_ffEEv20rocsparse_operation_T0_S3_S3_NS_24const_host_device_scalarIT4_EEPKS3_PKT1_PKT2_PT3_21rocsparse_index_base_b.numbered_sgpr, 18
	.set _ZN9rocsparseL13ellmvt_kernelILj1024Ei18rocsparse_bfloat16S1_ffEEv20rocsparse_operation_T0_S3_S3_NS_24const_host_device_scalarIT4_EEPKS3_PKT1_PKT2_PT3_21rocsparse_index_base_b.num_named_barrier, 0
	.set _ZN9rocsparseL13ellmvt_kernelILj1024Ei18rocsparse_bfloat16S1_ffEEv20rocsparse_operation_T0_S3_S3_NS_24const_host_device_scalarIT4_EEPKS3_PKT1_PKT2_PT3_21rocsparse_index_base_b.private_seg_size, 0
	.set _ZN9rocsparseL13ellmvt_kernelILj1024Ei18rocsparse_bfloat16S1_ffEEv20rocsparse_operation_T0_S3_S3_NS_24const_host_device_scalarIT4_EEPKS3_PKT1_PKT2_PT3_21rocsparse_index_base_b.uses_vcc, 1
	.set _ZN9rocsparseL13ellmvt_kernelILj1024Ei18rocsparse_bfloat16S1_ffEEv20rocsparse_operation_T0_S3_S3_NS_24const_host_device_scalarIT4_EEPKS3_PKT1_PKT2_PT3_21rocsparse_index_base_b.uses_flat_scratch, 0
	.set _ZN9rocsparseL13ellmvt_kernelILj1024Ei18rocsparse_bfloat16S1_ffEEv20rocsparse_operation_T0_S3_S3_NS_24const_host_device_scalarIT4_EEPKS3_PKT1_PKT2_PT3_21rocsparse_index_base_b.has_dyn_sized_stack, 0
	.set _ZN9rocsparseL13ellmvt_kernelILj1024Ei18rocsparse_bfloat16S1_ffEEv20rocsparse_operation_T0_S3_S3_NS_24const_host_device_scalarIT4_EEPKS3_PKT1_PKT2_PT3_21rocsparse_index_base_b.has_recursion, 0
	.set _ZN9rocsparseL13ellmvt_kernelILj1024Ei18rocsparse_bfloat16S1_ffEEv20rocsparse_operation_T0_S3_S3_NS_24const_host_device_scalarIT4_EEPKS3_PKT1_PKT2_PT3_21rocsparse_index_base_b.has_indirect_call, 0
	.section	.AMDGPU.csdata,"",@progbits
; Kernel info:
; codeLenInByte = 416
; TotalNumSgprs: 20
; NumVgprs: 7
; ScratchSize: 0
; MemoryBound: 0
; FloatMode: 240
; IeeeMode: 1
; LDSByteSize: 0 bytes/workgroup (compile time only)
; SGPRBlocks: 0
; VGPRBlocks: 0
; NumSGPRsForWavesPerEU: 20
; NumVGPRsForWavesPerEU: 7
; NamedBarCnt: 0
; Occupancy: 16
; WaveLimiterHint : 1
; COMPUTE_PGM_RSRC2:SCRATCH_EN: 0
; COMPUTE_PGM_RSRC2:USER_SGPR: 2
; COMPUTE_PGM_RSRC2:TRAP_HANDLER: 0
; COMPUTE_PGM_RSRC2:TGID_X_EN: 1
; COMPUTE_PGM_RSRC2:TGID_Y_EN: 0
; COMPUTE_PGM_RSRC2:TGID_Z_EN: 0
; COMPUTE_PGM_RSRC2:TIDIG_COMP_CNT: 0
	.section	.text._ZN9rocsparseL13ellmvn_kernelILj512El18rocsparse_bfloat16S1_ffEEvT0_S2_S2_NS_24const_host_device_scalarIT4_EEPKS2_PKT1_PKT2_S5_PT3_21rocsparse_index_base_b,"axG",@progbits,_ZN9rocsparseL13ellmvn_kernelILj512El18rocsparse_bfloat16S1_ffEEvT0_S2_S2_NS_24const_host_device_scalarIT4_EEPKS2_PKT1_PKT2_S5_PT3_21rocsparse_index_base_b,comdat
	.globl	_ZN9rocsparseL13ellmvn_kernelILj512El18rocsparse_bfloat16S1_ffEEvT0_S2_S2_NS_24const_host_device_scalarIT4_EEPKS2_PKT1_PKT2_S5_PT3_21rocsparse_index_base_b ; -- Begin function _ZN9rocsparseL13ellmvn_kernelILj512El18rocsparse_bfloat16S1_ffEEvT0_S2_S2_NS_24const_host_device_scalarIT4_EEPKS2_PKT1_PKT2_S5_PT3_21rocsparse_index_base_b
	.p2align	8
	.type	_ZN9rocsparseL13ellmvn_kernelILj512El18rocsparse_bfloat16S1_ffEEvT0_S2_S2_NS_24const_host_device_scalarIT4_EEPKS2_PKT1_PKT2_S5_PT3_21rocsparse_index_base_b,@function
_ZN9rocsparseL13ellmvn_kernelILj512El18rocsparse_bfloat16S1_ffEEvT0_S2_S2_NS_24const_host_device_scalarIT4_EEPKS2_PKT1_PKT2_S5_PT3_21rocsparse_index_base_b: ; @_ZN9rocsparseL13ellmvn_kernelILj512El18rocsparse_bfloat16S1_ffEEvT0_S2_S2_NS_24const_host_device_scalarIT4_EEPKS2_PKT1_PKT2_S5_PT3_21rocsparse_index_base_b
; %bb.0:
	s_clause 0x2
	s_load_b64 s[14:15], s[0:1], 0x48
	s_load_b64 s[12:13], s[0:1], 0x38
	s_load_b256 s[4:11], s[0:1], 0x0
	s_wait_kmcnt 0x0
	s_bitcmp1_b32 s15, 0
	s_cselect_b32 s2, -1, 0
	s_delay_alu instid0(SALU_CYCLE_1)
	s_and_b32 vcc_lo, exec_lo, s2
	s_xor_b32 s2, s2, -1
	s_cbranch_vccnz .LBB30_2
; %bb.1:
	s_load_b32 s10, s[10:11], 0x0
.LBB30_2:
	s_and_not1_b32 vcc_lo, exec_lo, s2
	s_cbranch_vccnz .LBB30_4
; %bb.3:
	s_load_b32 s12, s[12:13], 0x0
.LBB30_4:
	s_wait_kmcnt 0x0
	s_cmp_neq_f32 s10, 0
	s_cselect_b32 s2, -1, 0
	s_cmp_neq_f32 s12, 1.0
	s_cselect_b32 s3, -1, 0
	s_delay_alu instid0(SALU_CYCLE_1) | instskip(NEXT) | instid1(SALU_CYCLE_1)
	s_or_b32 s2, s2, s3
	s_and_not1_b32 vcc_lo, exec_lo, s2
	s_cbranch_vccnz .LBB30_15
; %bb.5:
	s_bfe_u32 s2, ttmp6, 0x4000c
	s_and_b32 s3, ttmp6, 15
	s_add_co_i32 s2, s2, 1
	s_getreg_b32 s11, hwreg(HW_REG_IB_STS2, 6, 4)
	s_mul_i32 s2, ttmp9, s2
	v_mov_b32_e32 v1, 0
	s_add_co_i32 s3, s3, s2
	s_cmp_eq_u32 s11, 0
	s_cselect_b32 s2, ttmp9, s3
	s_delay_alu instid0(SALU_CYCLE_1) | instskip(SKIP_1) | instid1(VALU_DEP_1)
	v_lshl_or_b32 v0, s2, 9, v0
	s_mov_b32 s2, exec_lo
	v_cmpx_gt_i64_e64 s[4:5], v[0:1]
	s_cbranch_execz .LBB30_15
; %bb.6:
	v_cmp_lt_i64_e64 s2, s[8:9], 1
	v_mov_b32_e32 v8, v1
	s_and_b32 vcc_lo, exec_lo, s2
	s_cbranch_vccnz .LBB30_12
; %bb.7:
	s_clause 0x1
	s_load_b128 s[20:23], s[0:1], 0x20
	s_load_b64 s[16:17], s[0:1], 0x30
	v_mov_b32_e32 v8, 0
	s_mov_b32 s15, 0
	s_add_nc_u64 s[8:9], s[8:9], -1
	s_lshl_b64 s[18:19], s[4:5], 3
	s_lshl_b64 s[4:5], s[4:5], 1
	s_mov_b32 s3, s15
	s_wait_kmcnt 0x0
	v_lshl_add_u64 v[2:3], v[0:1], 3, s[20:21]
	v_lshl_add_u64 v[4:5], v[0:1], 1, s[22:23]
	s_branch .LBB30_9
.LBB30_8:                               ;   in Loop: Header=BB30_9 Depth=1
	s_or_b32 exec_lo, exec_lo, s11
	s_cmp_eq_u64 s[8:9], 0
	v_add_nc_u64_e32 v[2:3], s[18:19], v[2:3]
	s_cselect_b32 s11, -1, 0
	v_add_nc_u64_e32 v[4:5], s[4:5], v[4:5]
	s_or_b32 s2, s2, s11
	s_add_nc_u64 s[8:9], s[8:9], -1
	s_and_b32 s2, exec_lo, s2
	s_delay_alu instid0(SALU_CYCLE_1) | instskip(NEXT) | instid1(SALU_CYCLE_1)
	s_or_b32 s3, s2, s3
	s_and_not1_b32 exec_lo, exec_lo, s3
	s_cbranch_execz .LBB30_11
.LBB30_9:                               ; =>This Inner Loop Header: Depth=1
	global_load_b64 v[6:7], v[2:3], off th:TH_LOAD_NT
	s_wait_loadcnt 0x0
	v_sub_nc_u64_e64 v[6:7], v[6:7], s[14:15]
	s_delay_alu instid0(VALU_DEP_1) | instskip(SKIP_2) | instid1(SALU_CYCLE_1)
	v_cmp_gt_i64_e32 vcc_lo, 0, v[6:7]
	v_cmp_le_i64_e64 s2, s[6:7], v[6:7]
	s_or_b32 s2, vcc_lo, s2
	s_xor_b32 s13, s2, -1
	s_delay_alu instid0(SALU_CYCLE_1)
	s_and_saveexec_b32 s11, s13
	s_cbranch_execz .LBB30_8
; %bb.10:                               ;   in Loop: Header=BB30_9 Depth=1
	v_lshl_add_u64 v[6:7], v[6:7], 1, s[16:17]
	global_load_u16 v9, v[4:5], off
	global_load_u16 v10, v[6:7], off
	s_wait_loadcnt 0x0
	v_fma_mix_f32_bf16 v8, v9, v10, v8 op_sel_hi:[1,1,0]
	s_branch .LBB30_8
.LBB30_11:
	s_or_b32 exec_lo, exec_lo, s3
.LBB30_12:
	s_load_b64 s[0:1], s[0:1], 0x40
	s_delay_alu instid0(VALU_DEP_1)
	v_mul_f32_e32 v2, s10, v8
	s_cmp_eq_f32 s12, 0
	s_wait_kmcnt 0x0
	v_lshl_add_u64 v[0:1], v[0:1], 2, s[0:1]
	s_mov_b32 s0, 0
	s_cbranch_scc0 .LBB30_16
; %bb.13:
	global_store_b32 v[0:1], v2, off th:TH_STORE_NT
	s_and_not1_b32 vcc_lo, exec_lo, s0
	s_cbranch_vccnz .LBB30_15
.LBB30_14:
	global_load_b32 v3, v[0:1], off th:TH_LOAD_NT
	s_wait_loadcnt 0x0
	s_wait_xcnt 0x1
	v_fmac_f32_e32 v2, s12, v3
	global_store_b32 v[0:1], v2, off th:TH_STORE_NT
.LBB30_15:
	s_endpgm
.LBB30_16:
	s_branch .LBB30_14
	.section	.rodata,"a",@progbits
	.p2align	6, 0x0
	.amdhsa_kernel _ZN9rocsparseL13ellmvn_kernelILj512El18rocsparse_bfloat16S1_ffEEvT0_S2_S2_NS_24const_host_device_scalarIT4_EEPKS2_PKT1_PKT2_S5_PT3_21rocsparse_index_base_b
		.amdhsa_group_segment_fixed_size 0
		.amdhsa_private_segment_fixed_size 0
		.amdhsa_kernarg_size 80
		.amdhsa_user_sgpr_count 2
		.amdhsa_user_sgpr_dispatch_ptr 0
		.amdhsa_user_sgpr_queue_ptr 0
		.amdhsa_user_sgpr_kernarg_segment_ptr 1
		.amdhsa_user_sgpr_dispatch_id 0
		.amdhsa_user_sgpr_kernarg_preload_length 0
		.amdhsa_user_sgpr_kernarg_preload_offset 0
		.amdhsa_user_sgpr_private_segment_size 0
		.amdhsa_wavefront_size32 1
		.amdhsa_uses_dynamic_stack 0
		.amdhsa_enable_private_segment 0
		.amdhsa_system_sgpr_workgroup_id_x 1
		.amdhsa_system_sgpr_workgroup_id_y 0
		.amdhsa_system_sgpr_workgroup_id_z 0
		.amdhsa_system_sgpr_workgroup_info 0
		.amdhsa_system_vgpr_workitem_id 0
		.amdhsa_next_free_vgpr 11
		.amdhsa_next_free_sgpr 24
		.amdhsa_named_barrier_count 0
		.amdhsa_reserve_vcc 1
		.amdhsa_float_round_mode_32 0
		.amdhsa_float_round_mode_16_64 0
		.amdhsa_float_denorm_mode_32 3
		.amdhsa_float_denorm_mode_16_64 3
		.amdhsa_fp16_overflow 0
		.amdhsa_memory_ordered 1
		.amdhsa_forward_progress 1
		.amdhsa_inst_pref_size 5
		.amdhsa_round_robin_scheduling 0
		.amdhsa_exception_fp_ieee_invalid_op 0
		.amdhsa_exception_fp_denorm_src 0
		.amdhsa_exception_fp_ieee_div_zero 0
		.amdhsa_exception_fp_ieee_overflow 0
		.amdhsa_exception_fp_ieee_underflow 0
		.amdhsa_exception_fp_ieee_inexact 0
		.amdhsa_exception_int_div_zero 0
	.end_amdhsa_kernel
	.section	.text._ZN9rocsparseL13ellmvn_kernelILj512El18rocsparse_bfloat16S1_ffEEvT0_S2_S2_NS_24const_host_device_scalarIT4_EEPKS2_PKT1_PKT2_S5_PT3_21rocsparse_index_base_b,"axG",@progbits,_ZN9rocsparseL13ellmvn_kernelILj512El18rocsparse_bfloat16S1_ffEEvT0_S2_S2_NS_24const_host_device_scalarIT4_EEPKS2_PKT1_PKT2_S5_PT3_21rocsparse_index_base_b,comdat
.Lfunc_end30:
	.size	_ZN9rocsparseL13ellmvn_kernelILj512El18rocsparse_bfloat16S1_ffEEvT0_S2_S2_NS_24const_host_device_scalarIT4_EEPKS2_PKT1_PKT2_S5_PT3_21rocsparse_index_base_b, .Lfunc_end30-_ZN9rocsparseL13ellmvn_kernelILj512El18rocsparse_bfloat16S1_ffEEvT0_S2_S2_NS_24const_host_device_scalarIT4_EEPKS2_PKT1_PKT2_S5_PT3_21rocsparse_index_base_b
                                        ; -- End function
	.set _ZN9rocsparseL13ellmvn_kernelILj512El18rocsparse_bfloat16S1_ffEEvT0_S2_S2_NS_24const_host_device_scalarIT4_EEPKS2_PKT1_PKT2_S5_PT3_21rocsparse_index_base_b.num_vgpr, 11
	.set _ZN9rocsparseL13ellmvn_kernelILj512El18rocsparse_bfloat16S1_ffEEvT0_S2_S2_NS_24const_host_device_scalarIT4_EEPKS2_PKT1_PKT2_S5_PT3_21rocsparse_index_base_b.num_agpr, 0
	.set _ZN9rocsparseL13ellmvn_kernelILj512El18rocsparse_bfloat16S1_ffEEvT0_S2_S2_NS_24const_host_device_scalarIT4_EEPKS2_PKT1_PKT2_S5_PT3_21rocsparse_index_base_b.numbered_sgpr, 24
	.set _ZN9rocsparseL13ellmvn_kernelILj512El18rocsparse_bfloat16S1_ffEEvT0_S2_S2_NS_24const_host_device_scalarIT4_EEPKS2_PKT1_PKT2_S5_PT3_21rocsparse_index_base_b.num_named_barrier, 0
	.set _ZN9rocsparseL13ellmvn_kernelILj512El18rocsparse_bfloat16S1_ffEEvT0_S2_S2_NS_24const_host_device_scalarIT4_EEPKS2_PKT1_PKT2_S5_PT3_21rocsparse_index_base_b.private_seg_size, 0
	.set _ZN9rocsparseL13ellmvn_kernelILj512El18rocsparse_bfloat16S1_ffEEvT0_S2_S2_NS_24const_host_device_scalarIT4_EEPKS2_PKT1_PKT2_S5_PT3_21rocsparse_index_base_b.uses_vcc, 1
	.set _ZN9rocsparseL13ellmvn_kernelILj512El18rocsparse_bfloat16S1_ffEEvT0_S2_S2_NS_24const_host_device_scalarIT4_EEPKS2_PKT1_PKT2_S5_PT3_21rocsparse_index_base_b.uses_flat_scratch, 0
	.set _ZN9rocsparseL13ellmvn_kernelILj512El18rocsparse_bfloat16S1_ffEEvT0_S2_S2_NS_24const_host_device_scalarIT4_EEPKS2_PKT1_PKT2_S5_PT3_21rocsparse_index_base_b.has_dyn_sized_stack, 0
	.set _ZN9rocsparseL13ellmvn_kernelILj512El18rocsparse_bfloat16S1_ffEEvT0_S2_S2_NS_24const_host_device_scalarIT4_EEPKS2_PKT1_PKT2_S5_PT3_21rocsparse_index_base_b.has_recursion, 0
	.set _ZN9rocsparseL13ellmvn_kernelILj512El18rocsparse_bfloat16S1_ffEEvT0_S2_S2_NS_24const_host_device_scalarIT4_EEPKS2_PKT1_PKT2_S5_PT3_21rocsparse_index_base_b.has_indirect_call, 0
	.section	.AMDGPU.csdata,"",@progbits
; Kernel info:
; codeLenInByte = 536
; TotalNumSgprs: 26
; NumVgprs: 11
; ScratchSize: 0
; MemoryBound: 0
; FloatMode: 240
; IeeeMode: 1
; LDSByteSize: 0 bytes/workgroup (compile time only)
; SGPRBlocks: 0
; VGPRBlocks: 0
; NumSGPRsForWavesPerEU: 26
; NumVGPRsForWavesPerEU: 11
; NamedBarCnt: 0
; Occupancy: 16
; WaveLimiterHint : 1
; COMPUTE_PGM_RSRC2:SCRATCH_EN: 0
; COMPUTE_PGM_RSRC2:USER_SGPR: 2
; COMPUTE_PGM_RSRC2:TRAP_HANDLER: 0
; COMPUTE_PGM_RSRC2:TGID_X_EN: 1
; COMPUTE_PGM_RSRC2:TGID_Y_EN: 0
; COMPUTE_PGM_RSRC2:TGID_Z_EN: 0
; COMPUTE_PGM_RSRC2:TIDIG_COMP_CNT: 0
	.section	.text._ZN9rocsparseL13ellmvt_kernelILj1024El18rocsparse_bfloat16S1_ffEEv20rocsparse_operation_T0_S3_S3_NS_24const_host_device_scalarIT4_EEPKS3_PKT1_PKT2_PT3_21rocsparse_index_base_b,"axG",@progbits,_ZN9rocsparseL13ellmvt_kernelILj1024El18rocsparse_bfloat16S1_ffEEv20rocsparse_operation_T0_S3_S3_NS_24const_host_device_scalarIT4_EEPKS3_PKT1_PKT2_PT3_21rocsparse_index_base_b,comdat
	.globl	_ZN9rocsparseL13ellmvt_kernelILj1024El18rocsparse_bfloat16S1_ffEEv20rocsparse_operation_T0_S3_S3_NS_24const_host_device_scalarIT4_EEPKS3_PKT1_PKT2_PT3_21rocsparse_index_base_b ; -- Begin function _ZN9rocsparseL13ellmvt_kernelILj1024El18rocsparse_bfloat16S1_ffEEv20rocsparse_operation_T0_S3_S3_NS_24const_host_device_scalarIT4_EEPKS3_PKT1_PKT2_PT3_21rocsparse_index_base_b
	.p2align	8
	.type	_ZN9rocsparseL13ellmvt_kernelILj1024El18rocsparse_bfloat16S1_ffEEv20rocsparse_operation_T0_S3_S3_NS_24const_host_device_scalarIT4_EEPKS3_PKT1_PKT2_PT3_21rocsparse_index_base_b,@function
_ZN9rocsparseL13ellmvt_kernelILj1024El18rocsparse_bfloat16S1_ffEEv20rocsparse_operation_T0_S3_S3_NS_24const_host_device_scalarIT4_EEPKS3_PKT1_PKT2_PT3_21rocsparse_index_base_b: ; @_ZN9rocsparseL13ellmvt_kernelILj1024El18rocsparse_bfloat16S1_ffEEv20rocsparse_operation_T0_S3_S3_NS_24const_host_device_scalarIT4_EEPKS3_PKT1_PKT2_PT3_21rocsparse_index_base_b
; %bb.0:
	s_clause 0x1
	s_load_b64 s[2:3], s[0:1], 0x48
	s_load_b256 s[4:11], s[0:1], 0x8
	s_wait_kmcnt 0x0
	s_bitcmp1_b32 s3, 0
	s_cselect_b32 s3, -1, 0
	s_delay_alu instid0(SALU_CYCLE_1)
	s_and_b32 vcc_lo, exec_lo, s3
	s_cbranch_vccnz .LBB31_2
; %bb.1:
	s_load_b32 s10, s[10:11], 0x0
.LBB31_2:
	s_wait_kmcnt 0x0
	s_cmp_eq_f32 s10, 0
	s_cbranch_scc1 .LBB31_9
; %bb.3:
	s_bfe_u32 s3, ttmp6, 0x4000c
	s_and_b32 s11, ttmp6, 15
	s_add_co_i32 s3, s3, 1
	s_getreg_b32 s12, hwreg(HW_REG_IB_STS2, 6, 4)
	s_mul_i32 s3, ttmp9, s3
	v_mov_b32_e32 v3, 0
	s_add_co_i32 s11, s11, s3
	s_cmp_eq_u32 s12, 0
	s_cselect_b32 s3, ttmp9, s11
	s_delay_alu instid0(SALU_CYCLE_1) | instskip(SKIP_1) | instid1(VALU_DEP_1)
	v_lshl_or_b32 v2, s3, 10, v0
	s_mov_b32 s3, exec_lo
	v_cmpx_gt_i64_e64 s[4:5], v[2:3]
	s_cbranch_execz .LBB31_9
; %bb.4:
	v_cmp_lt_i64_e64 s3, s[8:9], 1
	s_and_b32 vcc_lo, exec_lo, s3
	s_cbranch_vccnz .LBB31_9
; %bb.5:
	s_load_b256 s[12:19], s[0:1], 0x28
	v_lshlrev_b64_e32 v[0:1], 1, v[2:3]
	s_mov_b32 s3, 0
	s_wait_xcnt 0x0
	s_mov_b32 s1, s3
	s_wait_kmcnt 0x0
	s_delay_alu instid0(VALU_DEP_1)
	v_add_nc_u64_e32 v[4:5], s[16:17], v[0:1]
	v_add_nc_u64_e32 v[0:1], s[14:15], v[0:1]
	v_lshl_add_u64 v[2:3], v[2:3], 3, s[12:13]
                                        ; implicit-def: $sgpr12
	global_load_u16 v4, v[4:5], off
	s_wait_loadcnt 0x0
	v_lshlrev_b32_e32 v4, 16, v4
	s_delay_alu instid0(VALU_DEP_1)
	v_mul_f32_e32 v6, s10, v4
	s_lshl_b64 s[10:11], s[4:5], 3
	s_lshl_b64 s[4:5], s[4:5], 1
	s_branch .LBB31_7
.LBB31_6:                               ;   in Loop: Header=BB31_7 Depth=1
	s_wait_xcnt 0x0
	s_or_b32 exec_lo, exec_lo, s0
	s_delay_alu instid0(SALU_CYCLE_1) | instskip(NEXT) | instid1(SALU_CYCLE_1)
	s_and_b32 s0, exec_lo, s12
	s_or_b32 s1, s0, s1
	s_delay_alu instid0(SALU_CYCLE_1)
	s_and_not1_b32 exec_lo, exec_lo, s1
	s_cbranch_execz .LBB31_9
.LBB31_7:                               ; =>This Inner Loop Header: Depth=1
	global_load_b64 v[4:5], v[2:3], off th:TH_LOAD_NT
	s_or_b32 s12, s12, exec_lo
	s_wait_loadcnt 0x0
	v_sub_nc_u64_e64 v[4:5], v[4:5], s[2:3]
	s_delay_alu instid0(VALU_DEP_1)
	v_cmp_lt_i64_e32 vcc_lo, -1, v[4:5]
	v_cmp_gt_i64_e64 s0, s[6:7], v[4:5]
	s_and_b32 s13, vcc_lo, s0
	s_wait_xcnt 0x0
	s_and_saveexec_b32 s0, s13
	s_cbranch_execz .LBB31_6
; %bb.8:                                ;   in Loop: Header=BB31_7 Depth=1
	global_load_u16 v7, v[0:1], off
	v_lshl_add_u64 v[4:5], v[4:5], 2, s[18:19]
	s_add_nc_u64 s[8:9], s[8:9], -1
	v_add_nc_u64_e32 v[2:3], s[10:11], v[2:3]
	s_cmp_eq_u64 s[8:9], 0
	s_wait_xcnt 0x0
	v_add_nc_u64_e32 v[0:1], s[4:5], v[0:1]
	s_cselect_b32 s13, -1, 0
	s_and_not1_b32 s12, s12, exec_lo
	s_and_b32 s13, s13, exec_lo
	s_delay_alu instid0(SALU_CYCLE_1) | instskip(SKIP_2) | instid1(VALU_DEP_1)
	s_or_b32 s12, s12, s13
	s_wait_loadcnt 0x0
	v_lshlrev_b32_e32 v7, 16, v7
	v_mul_f32_e32 v7, v6, v7
	global_atomic_add_f32 v[4:5], v7, off scope:SCOPE_DEV
	s_branch .LBB31_6
.LBB31_9:
	s_endpgm
	.section	.rodata,"a",@progbits
	.p2align	6, 0x0
	.amdhsa_kernel _ZN9rocsparseL13ellmvt_kernelILj1024El18rocsparse_bfloat16S1_ffEEv20rocsparse_operation_T0_S3_S3_NS_24const_host_device_scalarIT4_EEPKS3_PKT1_PKT2_PT3_21rocsparse_index_base_b
		.amdhsa_group_segment_fixed_size 0
		.amdhsa_private_segment_fixed_size 0
		.amdhsa_kernarg_size 80
		.amdhsa_user_sgpr_count 2
		.amdhsa_user_sgpr_dispatch_ptr 0
		.amdhsa_user_sgpr_queue_ptr 0
		.amdhsa_user_sgpr_kernarg_segment_ptr 1
		.amdhsa_user_sgpr_dispatch_id 0
		.amdhsa_user_sgpr_kernarg_preload_length 0
		.amdhsa_user_sgpr_kernarg_preload_offset 0
		.amdhsa_user_sgpr_private_segment_size 0
		.amdhsa_wavefront_size32 1
		.amdhsa_uses_dynamic_stack 0
		.amdhsa_enable_private_segment 0
		.amdhsa_system_sgpr_workgroup_id_x 1
		.amdhsa_system_sgpr_workgroup_id_y 0
		.amdhsa_system_sgpr_workgroup_id_z 0
		.amdhsa_system_sgpr_workgroup_info 0
		.amdhsa_system_vgpr_workitem_id 0
		.amdhsa_next_free_vgpr 8
		.amdhsa_next_free_sgpr 20
		.amdhsa_named_barrier_count 0
		.amdhsa_reserve_vcc 1
		.amdhsa_float_round_mode_32 0
		.amdhsa_float_round_mode_16_64 0
		.amdhsa_float_denorm_mode_32 3
		.amdhsa_float_denorm_mode_16_64 3
		.amdhsa_fp16_overflow 0
		.amdhsa_memory_ordered 1
		.amdhsa_forward_progress 1
		.amdhsa_inst_pref_size 4
		.amdhsa_round_robin_scheduling 0
		.amdhsa_exception_fp_ieee_invalid_op 0
		.amdhsa_exception_fp_denorm_src 0
		.amdhsa_exception_fp_ieee_div_zero 0
		.amdhsa_exception_fp_ieee_overflow 0
		.amdhsa_exception_fp_ieee_underflow 0
		.amdhsa_exception_fp_ieee_inexact 0
		.amdhsa_exception_int_div_zero 0
	.end_amdhsa_kernel
	.section	.text._ZN9rocsparseL13ellmvt_kernelILj1024El18rocsparse_bfloat16S1_ffEEv20rocsparse_operation_T0_S3_S3_NS_24const_host_device_scalarIT4_EEPKS3_PKT1_PKT2_PT3_21rocsparse_index_base_b,"axG",@progbits,_ZN9rocsparseL13ellmvt_kernelILj1024El18rocsparse_bfloat16S1_ffEEv20rocsparse_operation_T0_S3_S3_NS_24const_host_device_scalarIT4_EEPKS3_PKT1_PKT2_PT3_21rocsparse_index_base_b,comdat
.Lfunc_end31:
	.size	_ZN9rocsparseL13ellmvt_kernelILj1024El18rocsparse_bfloat16S1_ffEEv20rocsparse_operation_T0_S3_S3_NS_24const_host_device_scalarIT4_EEPKS3_PKT1_PKT2_PT3_21rocsparse_index_base_b, .Lfunc_end31-_ZN9rocsparseL13ellmvt_kernelILj1024El18rocsparse_bfloat16S1_ffEEv20rocsparse_operation_T0_S3_S3_NS_24const_host_device_scalarIT4_EEPKS3_PKT1_PKT2_PT3_21rocsparse_index_base_b
                                        ; -- End function
	.set _ZN9rocsparseL13ellmvt_kernelILj1024El18rocsparse_bfloat16S1_ffEEv20rocsparse_operation_T0_S3_S3_NS_24const_host_device_scalarIT4_EEPKS3_PKT1_PKT2_PT3_21rocsparse_index_base_b.num_vgpr, 8
	.set _ZN9rocsparseL13ellmvt_kernelILj1024El18rocsparse_bfloat16S1_ffEEv20rocsparse_operation_T0_S3_S3_NS_24const_host_device_scalarIT4_EEPKS3_PKT1_PKT2_PT3_21rocsparse_index_base_b.num_agpr, 0
	.set _ZN9rocsparseL13ellmvt_kernelILj1024El18rocsparse_bfloat16S1_ffEEv20rocsparse_operation_T0_S3_S3_NS_24const_host_device_scalarIT4_EEPKS3_PKT1_PKT2_PT3_21rocsparse_index_base_b.numbered_sgpr, 20
	.set _ZN9rocsparseL13ellmvt_kernelILj1024El18rocsparse_bfloat16S1_ffEEv20rocsparse_operation_T0_S3_S3_NS_24const_host_device_scalarIT4_EEPKS3_PKT1_PKT2_PT3_21rocsparse_index_base_b.num_named_barrier, 0
	.set _ZN9rocsparseL13ellmvt_kernelILj1024El18rocsparse_bfloat16S1_ffEEv20rocsparse_operation_T0_S3_S3_NS_24const_host_device_scalarIT4_EEPKS3_PKT1_PKT2_PT3_21rocsparse_index_base_b.private_seg_size, 0
	.set _ZN9rocsparseL13ellmvt_kernelILj1024El18rocsparse_bfloat16S1_ffEEv20rocsparse_operation_T0_S3_S3_NS_24const_host_device_scalarIT4_EEPKS3_PKT1_PKT2_PT3_21rocsparse_index_base_b.uses_vcc, 1
	.set _ZN9rocsparseL13ellmvt_kernelILj1024El18rocsparse_bfloat16S1_ffEEv20rocsparse_operation_T0_S3_S3_NS_24const_host_device_scalarIT4_EEPKS3_PKT1_PKT2_PT3_21rocsparse_index_base_b.uses_flat_scratch, 0
	.set _ZN9rocsparseL13ellmvt_kernelILj1024El18rocsparse_bfloat16S1_ffEEv20rocsparse_operation_T0_S3_S3_NS_24const_host_device_scalarIT4_EEPKS3_PKT1_PKT2_PT3_21rocsparse_index_base_b.has_dyn_sized_stack, 0
	.set _ZN9rocsparseL13ellmvt_kernelILj1024El18rocsparse_bfloat16S1_ffEEv20rocsparse_operation_T0_S3_S3_NS_24const_host_device_scalarIT4_EEPKS3_PKT1_PKT2_PT3_21rocsparse_index_base_b.has_recursion, 0
	.set _ZN9rocsparseL13ellmvt_kernelILj1024El18rocsparse_bfloat16S1_ffEEv20rocsparse_operation_T0_S3_S3_NS_24const_host_device_scalarIT4_EEPKS3_PKT1_PKT2_PT3_21rocsparse_index_base_b.has_indirect_call, 0
	.section	.AMDGPU.csdata,"",@progbits
; Kernel info:
; codeLenInByte = 420
; TotalNumSgprs: 22
; NumVgprs: 8
; ScratchSize: 0
; MemoryBound: 0
; FloatMode: 240
; IeeeMode: 1
; LDSByteSize: 0 bytes/workgroup (compile time only)
; SGPRBlocks: 0
; VGPRBlocks: 0
; NumSGPRsForWavesPerEU: 22
; NumVGPRsForWavesPerEU: 8
; NamedBarCnt: 0
; Occupancy: 16
; WaveLimiterHint : 1
; COMPUTE_PGM_RSRC2:SCRATCH_EN: 0
; COMPUTE_PGM_RSRC2:USER_SGPR: 2
; COMPUTE_PGM_RSRC2:TRAP_HANDLER: 0
; COMPUTE_PGM_RSRC2:TGID_X_EN: 1
; COMPUTE_PGM_RSRC2:TGID_Y_EN: 0
; COMPUTE_PGM_RSRC2:TGID_Z_EN: 0
; COMPUTE_PGM_RSRC2:TIDIG_COMP_CNT: 0
	.section	.text._ZN9rocsparseL13ellmvn_kernelILj512Eif21rocsparse_complex_numIfES2_S2_EEvT0_S3_S3_NS_24const_host_device_scalarIT4_EEPKS3_PKT1_PKT2_S6_PT3_21rocsparse_index_base_b,"axG",@progbits,_ZN9rocsparseL13ellmvn_kernelILj512Eif21rocsparse_complex_numIfES2_S2_EEvT0_S3_S3_NS_24const_host_device_scalarIT4_EEPKS3_PKT1_PKT2_S6_PT3_21rocsparse_index_base_b,comdat
	.globl	_ZN9rocsparseL13ellmvn_kernelILj512Eif21rocsparse_complex_numIfES2_S2_EEvT0_S3_S3_NS_24const_host_device_scalarIT4_EEPKS3_PKT1_PKT2_S6_PT3_21rocsparse_index_base_b ; -- Begin function _ZN9rocsparseL13ellmvn_kernelILj512Eif21rocsparse_complex_numIfES2_S2_EEvT0_S3_S3_NS_24const_host_device_scalarIT4_EEPKS3_PKT1_PKT2_S6_PT3_21rocsparse_index_base_b
	.p2align	8
	.type	_ZN9rocsparseL13ellmvn_kernelILj512Eif21rocsparse_complex_numIfES2_S2_EEvT0_S3_S3_NS_24const_host_device_scalarIT4_EEPKS3_PKT1_PKT2_S6_PT3_21rocsparse_index_base_b,@function
_ZN9rocsparseL13ellmvn_kernelILj512Eif21rocsparse_complex_numIfES2_S2_EEvT0_S3_S3_NS_24const_host_device_scalarIT4_EEPKS3_PKT1_PKT2_S6_PT3_21rocsparse_index_base_b: ; @_ZN9rocsparseL13ellmvn_kernelILj512Eif21rocsparse_complex_numIfES2_S2_EEvT0_S3_S3_NS_24const_host_device_scalarIT4_EEPKS3_PKT1_PKT2_S6_PT3_21rocsparse_index_base_b
; %bb.0:
	s_clause 0x2
	s_load_b64 s[12:13], s[0:1], 0x40
	s_load_b64 s[2:3], s[0:1], 0x10
	;; [unrolled: 1-line block ×3, first 2 shown]
	v_mov_b32_e32 v1, 0
	s_add_nc_u64 s[6:7], s[0:1], 16
	s_add_nc_u64 s[8:9], s[0:1], 48
	s_wait_kmcnt 0x0
	s_bitcmp1_b32 s13, 0
	s_cselect_b32 s3, s7, s3
	s_cselect_b32 s2, s6, s2
	;; [unrolled: 1-line block ×4, first 2 shown]
	s_clause 0x1
	flat_load_b64 v[2:3], v1, s[2:3]
	flat_load_b64 v[4:5], v1, s[4:5]
	s_wait_loadcnt_dscnt 0x101
	s_wait_xcnt 0x1
	v_cmp_neq_f32_e64 s2, 0, v2
	v_cmp_neq_f32_e64 s3, 0, v3
	s_wait_loadcnt_dscnt 0x0
	v_cmp_neq_f32_e64 s4, 1.0, v4
	v_cmp_neq_f32_e32 vcc_lo, 0, v5
	s_or_b32 s2, s2, s3
	s_or_b32 s3, s4, vcc_lo
	s_delay_alu instid0(SALU_CYCLE_1) | instskip(NEXT) | instid1(SALU_CYCLE_1)
	s_or_b32 s2, s2, s3
	s_and_saveexec_b32 s3, s2
	s_cbranch_execz .LBB32_13
; %bb.1:
	s_load_b96 s[8:10], s[0:1], 0x0
	s_bfe_u32 s2, ttmp6, 0x4000c
	s_and_b32 s3, ttmp6, 15
	s_add_co_i32 s2, s2, 1
	s_getreg_b32 s4, hwreg(HW_REG_IB_STS2, 6, 4)
	s_mul_i32 s2, ttmp9, s2
	s_delay_alu instid0(SALU_CYCLE_1) | instskip(SKIP_2) | instid1(SALU_CYCLE_1)
	s_add_co_i32 s3, s3, s2
	s_cmp_eq_u32 s4, 0
	s_cselect_b32 s2, ttmp9, s3
	v_lshl_or_b32 v0, s2, 9, v0
	s_wait_kmcnt 0x0
	s_delay_alu instid0(VALU_DEP_1)
	v_cmp_gt_i32_e64 s2, s8, v0
	s_and_b32 exec_lo, exec_lo, s2
	s_cbranch_execz .LBB32_13
; %bb.2:
	s_load_b64 s[2:3], s[0:1], 0x38
	s_cmp_lt_i32 s10, 1
	s_cbranch_scc1 .LBB32_8
; %bb.3:
	s_clause 0x1
	s_load_b128 s[4:7], s[0:1], 0x18
	s_load_b64 s[14:15], s[0:1], 0x28
	v_dual_mov_b32 v8, 0 :: v_dual_ashrrev_i32 v1, 31, v0
	v_bfrev_b32_e32 v13, 1
	v_mov_b32_e32 v6, 0
	s_wait_xcnt 0x0
	s_ashr_i32 s1, s8, 31
	v_lshlrev_b64_e32 v[10:11], 2, v[0:1]
	v_mov_b32_e32 v7, v8
	s_mov_b32 s0, s8
	s_mov_b32 s8, 0
	s_lshl_b64 s[16:17], s[0:1], 2
                                        ; implicit-def: $sgpr11
	s_branch .LBB32_5
.LBB32_4:                               ;   in Loop: Header=BB32_5 Depth=1
	s_or_b32 exec_lo, exec_lo, s0
	s_delay_alu instid0(SALU_CYCLE_1) | instskip(NEXT) | instid1(SALU_CYCLE_1)
	s_and_b32 s0, exec_lo, s11
	s_or_b32 s8, s0, s8
	s_delay_alu instid0(SALU_CYCLE_1)
	s_and_not1_b32 exec_lo, exec_lo, s8
	s_cbranch_execz .LBB32_7
.LBB32_5:                               ; =>This Inner Loop Header: Depth=1
	s_wait_kmcnt 0x0
	v_add_nc_u64_e32 v[14:15], s[4:5], v[10:11]
	s_or_b32 s11, s11, exec_lo
	global_load_b32 v1, v[14:15], off th:TH_LOAD_NT
	s_wait_loadcnt 0x0
	v_subrev_nc_u32_e32 v1, s12, v1
	s_delay_alu instid0(VALU_DEP_1) | instskip(SKIP_2) | instid1(SALU_CYCLE_1)
	v_cmp_lt_i32_e64 s0, -1, v1
	v_cmp_gt_i32_e64 s1, s9, v1
	s_and_b32 s1, s0, s1
	s_and_saveexec_b32 s0, s1
	s_cbranch_execz .LBB32_4
; %bb.6:                                ;   in Loop: Header=BB32_5 Depth=1
	v_add_nc_u64_e32 v[14:15], s[6:7], v[10:11]
	s_add_co_i32 s10, s10, -1
	v_add_nc_u64_e32 v[10:11], s[16:17], v[10:11]
	s_cmp_eq_u32 s10, 0
	global_load_b64 v[16:17], v1, s[14:15] scale_offset
	global_load_b32 v9, v[14:15], off th:TH_LOAD_NT
	s_cselect_b32 s1, -1, 0
	s_and_not1_b32 s11, s11, exec_lo
	s_and_b32 s1, s1, exec_lo
	s_delay_alu instid0(SALU_CYCLE_1) | instskip(SKIP_3) | instid1(VALU_DEP_1)
	s_or_b32 s11, s11, s1
	s_wait_loadcnt 0x0
	v_pk_fma_f32 v[6:7], v[16:17], v[8:9], v[6:7] op_sel_hi:[0,1,1]
	v_mov_b32_e32 v12, v9
	v_pk_fma_f32 v[6:7], v[16:17], v[12:13], v[6:7] op_sel:[1,0,0]
	s_branch .LBB32_4
.LBB32_7:
	s_or_b32 exec_lo, exec_lo, s8
	s_branch .LBB32_9
.LBB32_8:
	v_mov_b32_e32 v7, 0
	s_delay_alu instid0(VALU_DEP_1)
	v_mov_b32_e32 v6, v7
.LBB32_9:
	s_wait_xcnt 0x0
	v_cmp_eq_f32_e64 s0, 0, v4
	s_xor_b32 s1, vcc_lo, -1
	s_delay_alu instid0(SALU_CYCLE_1) | instskip(NEXT) | instid1(SALU_CYCLE_1)
	s_and_b32 s0, s0, s1
	s_and_saveexec_b32 s1, s0
	s_delay_alu instid0(SALU_CYCLE_1)
	s_xor_b32 s0, exec_lo, s1
	s_cbranch_execz .LBB32_11
; %bb.10:
	v_xor_b32_e32 v4, 0x80000000, v3
	v_mov_b32_e32 v5, v2
	s_delay_alu instid0(VALU_DEP_1) | instskip(NEXT) | instid1(VALU_DEP_1)
	v_pk_mul_f32 v[4:5], v[6:7], v[4:5] op_sel_hi:[0,1]
	v_pk_fma_f32 v[2:3], v[2:3], v[6:7], v[4:5] op_sel:[0,1,0]
                                        ; implicit-def: $vgpr4_vgpr5
                                        ; implicit-def: $vgpr6_vgpr7
	s_wait_kmcnt 0x0
	global_store_b64 v0, v[2:3], s[2:3] scale_offset th:TH_STORE_NT
                                        ; implicit-def: $vgpr0
                                        ; implicit-def: $vgpr2_vgpr3
.LBB32_11:
	s_wait_xcnt 0x0
	s_and_not1_saveexec_b32 s0, s0
	s_cbranch_execz .LBB32_13
; %bb.12:
	s_wait_kmcnt 0x0
	global_load_b64 v[8:9], v0, s[2:3] scale_offset th:TH_LOAD_NT
	v_xor_b32_e32 v10, 0x80000000, v3
	v_mov_b32_e32 v11, v2
	s_delay_alu instid0(VALU_DEP_1) | instskip(NEXT) | instid1(VALU_DEP_1)
	v_pk_mul_f32 v[10:11], v[6:7], v[10:11] op_sel_hi:[0,1]
	v_pk_fma_f32 v[2:3], v[2:3], v[6:7], v[10:11] op_sel:[0,1,0]
	v_xor_b32_e32 v6, 0x80000000, v5
	v_mov_b32_e32 v7, v4
	s_wait_loadcnt 0x0
	s_delay_alu instid0(VALU_DEP_3) | instskip(NEXT) | instid1(VALU_DEP_1)
	v_pk_fma_f32 v[2:3], v[4:5], v[8:9], v[2:3] op_sel_hi:[1,0,1]
	v_pk_fma_f32 v[2:3], v[6:7], v[8:9], v[2:3] op_sel:[0,1,0]
	global_store_b64 v0, v[2:3], s[2:3] scale_offset th:TH_STORE_NT
.LBB32_13:
	s_endpgm
	.section	.rodata,"a",@progbits
	.p2align	6, 0x0
	.amdhsa_kernel _ZN9rocsparseL13ellmvn_kernelILj512Eif21rocsparse_complex_numIfES2_S2_EEvT0_S3_S3_NS_24const_host_device_scalarIT4_EEPKS3_PKT1_PKT2_S6_PT3_21rocsparse_index_base_b
		.amdhsa_group_segment_fixed_size 0
		.amdhsa_private_segment_fixed_size 0
		.amdhsa_kernarg_size 72
		.amdhsa_user_sgpr_count 2
		.amdhsa_user_sgpr_dispatch_ptr 0
		.amdhsa_user_sgpr_queue_ptr 0
		.amdhsa_user_sgpr_kernarg_segment_ptr 1
		.amdhsa_user_sgpr_dispatch_id 0
		.amdhsa_user_sgpr_kernarg_preload_length 0
		.amdhsa_user_sgpr_kernarg_preload_offset 0
		.amdhsa_user_sgpr_private_segment_size 0
		.amdhsa_wavefront_size32 1
		.amdhsa_uses_dynamic_stack 0
		.amdhsa_enable_private_segment 0
		.amdhsa_system_sgpr_workgroup_id_x 1
		.amdhsa_system_sgpr_workgroup_id_y 0
		.amdhsa_system_sgpr_workgroup_id_z 0
		.amdhsa_system_sgpr_workgroup_info 0
		.amdhsa_system_vgpr_workitem_id 0
		.amdhsa_next_free_vgpr 18
		.amdhsa_next_free_sgpr 18
		.amdhsa_named_barrier_count 0
		.amdhsa_reserve_vcc 1
		.amdhsa_float_round_mode_32 0
		.amdhsa_float_round_mode_16_64 0
		.amdhsa_float_denorm_mode_32 3
		.amdhsa_float_denorm_mode_16_64 3
		.amdhsa_fp16_overflow 0
		.amdhsa_memory_ordered 1
		.amdhsa_forward_progress 1
		.amdhsa_inst_pref_size 6
		.amdhsa_round_robin_scheduling 0
		.amdhsa_exception_fp_ieee_invalid_op 0
		.amdhsa_exception_fp_denorm_src 0
		.amdhsa_exception_fp_ieee_div_zero 0
		.amdhsa_exception_fp_ieee_overflow 0
		.amdhsa_exception_fp_ieee_underflow 0
		.amdhsa_exception_fp_ieee_inexact 0
		.amdhsa_exception_int_div_zero 0
	.end_amdhsa_kernel
	.section	.text._ZN9rocsparseL13ellmvn_kernelILj512Eif21rocsparse_complex_numIfES2_S2_EEvT0_S3_S3_NS_24const_host_device_scalarIT4_EEPKS3_PKT1_PKT2_S6_PT3_21rocsparse_index_base_b,"axG",@progbits,_ZN9rocsparseL13ellmvn_kernelILj512Eif21rocsparse_complex_numIfES2_S2_EEvT0_S3_S3_NS_24const_host_device_scalarIT4_EEPKS3_PKT1_PKT2_S6_PT3_21rocsparse_index_base_b,comdat
.Lfunc_end32:
	.size	_ZN9rocsparseL13ellmvn_kernelILj512Eif21rocsparse_complex_numIfES2_S2_EEvT0_S3_S3_NS_24const_host_device_scalarIT4_EEPKS3_PKT1_PKT2_S6_PT3_21rocsparse_index_base_b, .Lfunc_end32-_ZN9rocsparseL13ellmvn_kernelILj512Eif21rocsparse_complex_numIfES2_S2_EEvT0_S3_S3_NS_24const_host_device_scalarIT4_EEPKS3_PKT1_PKT2_S6_PT3_21rocsparse_index_base_b
                                        ; -- End function
	.set _ZN9rocsparseL13ellmvn_kernelILj512Eif21rocsparse_complex_numIfES2_S2_EEvT0_S3_S3_NS_24const_host_device_scalarIT4_EEPKS3_PKT1_PKT2_S6_PT3_21rocsparse_index_base_b.num_vgpr, 18
	.set _ZN9rocsparseL13ellmvn_kernelILj512Eif21rocsparse_complex_numIfES2_S2_EEvT0_S3_S3_NS_24const_host_device_scalarIT4_EEPKS3_PKT1_PKT2_S6_PT3_21rocsparse_index_base_b.num_agpr, 0
	.set _ZN9rocsparseL13ellmvn_kernelILj512Eif21rocsparse_complex_numIfES2_S2_EEvT0_S3_S3_NS_24const_host_device_scalarIT4_EEPKS3_PKT1_PKT2_S6_PT3_21rocsparse_index_base_b.numbered_sgpr, 18
	.set _ZN9rocsparseL13ellmvn_kernelILj512Eif21rocsparse_complex_numIfES2_S2_EEvT0_S3_S3_NS_24const_host_device_scalarIT4_EEPKS3_PKT1_PKT2_S6_PT3_21rocsparse_index_base_b.num_named_barrier, 0
	.set _ZN9rocsparseL13ellmvn_kernelILj512Eif21rocsparse_complex_numIfES2_S2_EEvT0_S3_S3_NS_24const_host_device_scalarIT4_EEPKS3_PKT1_PKT2_S6_PT3_21rocsparse_index_base_b.private_seg_size, 0
	.set _ZN9rocsparseL13ellmvn_kernelILj512Eif21rocsparse_complex_numIfES2_S2_EEvT0_S3_S3_NS_24const_host_device_scalarIT4_EEPKS3_PKT1_PKT2_S6_PT3_21rocsparse_index_base_b.uses_vcc, 1
	.set _ZN9rocsparseL13ellmvn_kernelILj512Eif21rocsparse_complex_numIfES2_S2_EEvT0_S3_S3_NS_24const_host_device_scalarIT4_EEPKS3_PKT1_PKT2_S6_PT3_21rocsparse_index_base_b.uses_flat_scratch, 1
	.set _ZN9rocsparseL13ellmvn_kernelILj512Eif21rocsparse_complex_numIfES2_S2_EEvT0_S3_S3_NS_24const_host_device_scalarIT4_EEPKS3_PKT1_PKT2_S6_PT3_21rocsparse_index_base_b.has_dyn_sized_stack, 0
	.set _ZN9rocsparseL13ellmvn_kernelILj512Eif21rocsparse_complex_numIfES2_S2_EEvT0_S3_S3_NS_24const_host_device_scalarIT4_EEPKS3_PKT1_PKT2_S6_PT3_21rocsparse_index_base_b.has_recursion, 0
	.set _ZN9rocsparseL13ellmvn_kernelILj512Eif21rocsparse_complex_numIfES2_S2_EEvT0_S3_S3_NS_24const_host_device_scalarIT4_EEPKS3_PKT1_PKT2_S6_PT3_21rocsparse_index_base_b.has_indirect_call, 0
	.section	.AMDGPU.csdata,"",@progbits
; Kernel info:
; codeLenInByte = 720
; TotalNumSgprs: 20
; NumVgprs: 18
; ScratchSize: 0
; MemoryBound: 0
; FloatMode: 240
; IeeeMode: 1
; LDSByteSize: 0 bytes/workgroup (compile time only)
; SGPRBlocks: 0
; VGPRBlocks: 1
; NumSGPRsForWavesPerEU: 20
; NumVGPRsForWavesPerEU: 18
; NamedBarCnt: 0
; Occupancy: 16
; WaveLimiterHint : 1
; COMPUTE_PGM_RSRC2:SCRATCH_EN: 0
; COMPUTE_PGM_RSRC2:USER_SGPR: 2
; COMPUTE_PGM_RSRC2:TRAP_HANDLER: 0
; COMPUTE_PGM_RSRC2:TGID_X_EN: 1
; COMPUTE_PGM_RSRC2:TGID_Y_EN: 0
; COMPUTE_PGM_RSRC2:TGID_Z_EN: 0
; COMPUTE_PGM_RSRC2:TIDIG_COMP_CNT: 0
	.section	.text._ZN9rocsparseL13ellmvt_kernelILj1024Eif21rocsparse_complex_numIfES2_S2_EEv20rocsparse_operation_T0_S4_S4_NS_24const_host_device_scalarIT4_EEPKS4_PKT1_PKT2_PT3_21rocsparse_index_base_b,"axG",@progbits,_ZN9rocsparseL13ellmvt_kernelILj1024Eif21rocsparse_complex_numIfES2_S2_EEv20rocsparse_operation_T0_S4_S4_NS_24const_host_device_scalarIT4_EEPKS4_PKT1_PKT2_PT3_21rocsparse_index_base_b,comdat
	.globl	_ZN9rocsparseL13ellmvt_kernelILj1024Eif21rocsparse_complex_numIfES2_S2_EEv20rocsparse_operation_T0_S4_S4_NS_24const_host_device_scalarIT4_EEPKS4_PKT1_PKT2_PT3_21rocsparse_index_base_b ; -- Begin function _ZN9rocsparseL13ellmvt_kernelILj1024Eif21rocsparse_complex_numIfES2_S2_EEv20rocsparse_operation_T0_S4_S4_NS_24const_host_device_scalarIT4_EEPKS4_PKT1_PKT2_PT3_21rocsparse_index_base_b
	.p2align	8
	.type	_ZN9rocsparseL13ellmvt_kernelILj1024Eif21rocsparse_complex_numIfES2_S2_EEv20rocsparse_operation_T0_S4_S4_NS_24const_host_device_scalarIT4_EEPKS4_PKT1_PKT2_PT3_21rocsparse_index_base_b,@function
_ZN9rocsparseL13ellmvt_kernelILj1024Eif21rocsparse_complex_numIfES2_S2_EEv20rocsparse_operation_T0_S4_S4_NS_24const_host_device_scalarIT4_EEPKS4_PKT1_PKT2_PT3_21rocsparse_index_base_b: ; @_ZN9rocsparseL13ellmvt_kernelILj1024Eif21rocsparse_complex_numIfES2_S2_EEv20rocsparse_operation_T0_S4_S4_NS_24const_host_device_scalarIT4_EEPKS4_PKT1_PKT2_PT3_21rocsparse_index_base_b
; %bb.0:
	s_clause 0x1
	s_load_b64 s[16:17], s[0:1], 0x38
	s_load_b64 s[2:3], s[0:1], 0x10
	v_mov_b32_e32 v1, 0
	s_add_nc_u64 s[4:5], s[0:1], 16
	s_wait_kmcnt 0x0
	s_bitcmp1_b32 s17, 0
	s_cselect_b32 s3, s5, s3
	s_cselect_b32 s2, s4, s2
	flat_load_b64 v[2:3], v1, s[2:3]
	s_wait_loadcnt_dscnt 0x0
	v_cmp_neq_f32_e32 vcc_lo, 0, v2
	v_cmp_neq_f32_e64 s2, 0, v3
	s_or_b32 s2, vcc_lo, s2
	s_delay_alu instid0(SALU_CYCLE_1)
	s_and_saveexec_b32 s3, s2
	s_cbranch_execz .LBB33_7
; %bb.1:
	s_load_b96 s[12:14], s[0:1], 0x4
	s_bfe_u32 s2, ttmp6, 0x4000c
	s_and_b32 s3, ttmp6, 15
	s_add_co_i32 s2, s2, 1
	s_getreg_b32 s4, hwreg(HW_REG_IB_STS2, 6, 4)
	s_mul_i32 s2, ttmp9, s2
	s_delay_alu instid0(SALU_CYCLE_1) | instskip(SKIP_2) | instid1(SALU_CYCLE_1)
	s_add_co_i32 s3, s3, s2
	s_cmp_eq_u32 s4, 0
	s_cselect_b32 s2, ttmp9, s3
	v_lshl_or_b32 v0, s2, 10, v0
	s_wait_kmcnt 0x0
	s_delay_alu instid0(VALU_DEP_1)
	v_cmp_gt_i32_e32 vcc_lo, s12, v0
	s_and_b32 exec_lo, exec_lo, vcc_lo
	s_cbranch_execz .LBB33_7
; %bb.2:
	s_cmp_lt_i32 s14, 1
	s_cbranch_scc1 .LBB33_7
; %bb.3:
	s_load_b256 s[4:11], s[0:1], 0x18
	s_ashr_i32 s3, s12, 31
	s_mov_b32 s2, s12
	s_wait_xcnt 0x0
	s_mov_b32 s1, 0
	s_lshl_b64 s[2:3], s[2:3], 2
	v_ashrrev_i32_e32 v1, 31, v0
	s_wait_kmcnt 0x0
	global_load_b64 v[6:7], v0, s[8:9] scale_offset
                                        ; implicit-def: $sgpr8
	s_wait_xcnt 0x0
	v_lshlrev_b64_e32 v[0:1], 2, v[0:1]
	s_wait_loadcnt 0x0
	v_mul_f32_e32 v4, v2, v7
	v_mul_f32_e64 v5, v7, -v3
	s_delay_alu instid0(VALU_DEP_2) | instskip(NEXT) | instid1(VALU_DEP_1)
	v_dual_fmac_f32 v4, v3, v6 :: v_dual_mov_b32 v3, 0
	v_dual_fmac_f32 v5, v2, v6 :: v_dual_mul_f32 v6, 0x80000000, v4
	s_delay_alu instid0(VALU_DEP_1)
	v_mul_f32_e32 v7, 0, v5
	s_branch .LBB33_5
.LBB33_4:                               ;   in Loop: Header=BB33_5 Depth=1
	s_wait_xcnt 0x0
	s_or_b32 exec_lo, exec_lo, s0
	s_delay_alu instid0(SALU_CYCLE_1) | instskip(NEXT) | instid1(SALU_CYCLE_1)
	s_and_b32 s0, exec_lo, s8
	s_or_b32 s1, s0, s1
	s_delay_alu instid0(SALU_CYCLE_1)
	s_and_not1_b32 exec_lo, exec_lo, s1
	s_cbranch_execz .LBB33_7
.LBB33_5:                               ; =>This Inner Loop Header: Depth=1
	v_add_nc_u64_e32 v[8:9], s[4:5], v[0:1]
	s_or_b32 s8, s8, exec_lo
	global_load_b32 v2, v[8:9], off th:TH_LOAD_NT
	s_wait_loadcnt 0x0
	v_subrev_nc_u32_e32 v2, s16, v2
	s_delay_alu instid0(VALU_DEP_1)
	v_cmp_lt_i32_e32 vcc_lo, -1, v2
	v_cmp_gt_i32_e64 s0, s13, v2
	s_and_b32 s9, vcc_lo, s0
	s_wait_xcnt 0x0
	s_and_saveexec_b32 s0, s9
	s_cbranch_execz .LBB33_4
; %bb.6:                                ;   in Loop: Header=BB33_5 Depth=1
	v_add_nc_u64_e32 v[8:9], s[6:7], v[0:1]
	s_add_co_i32 s14, s14, -1
	v_add_nc_u64_e32 v[0:1], s[2:3], v[0:1]
	s_cmp_eq_u32 s14, 0
	s_cselect_b32 s9, -1, 0
	s_and_not1_b32 s8, s8, exec_lo
	global_load_b32 v10, v[8:9], off th:TH_LOAD_NT
	s_wait_xcnt 0x0
	v_lshl_add_u64 v[8:9], v[2:3], 3, s[10:11]
	s_and_b32 s9, s9, exec_lo
	s_delay_alu instid0(SALU_CYCLE_1)
	s_or_b32 s8, s8, s9
	s_wait_loadcnt 0x0
	v_dual_fma_f32 v2, v5, v10, v6 :: v_dual_fma_f32 v10, v4, v10, v7
	global_atomic_add_f32 v[8:9], v2, off scope:SCOPE_DEV
	s_wait_xcnt 0x0
	global_atomic_add_f32 v[8:9], v10, off offset:4 scope:SCOPE_DEV
	s_branch .LBB33_4
.LBB33_7:
	s_endpgm
	.section	.rodata,"a",@progbits
	.p2align	6, 0x0
	.amdhsa_kernel _ZN9rocsparseL13ellmvt_kernelILj1024Eif21rocsparse_complex_numIfES2_S2_EEv20rocsparse_operation_T0_S4_S4_NS_24const_host_device_scalarIT4_EEPKS4_PKT1_PKT2_PT3_21rocsparse_index_base_b
		.amdhsa_group_segment_fixed_size 0
		.amdhsa_private_segment_fixed_size 0
		.amdhsa_kernarg_size 64
		.amdhsa_user_sgpr_count 2
		.amdhsa_user_sgpr_dispatch_ptr 0
		.amdhsa_user_sgpr_queue_ptr 0
		.amdhsa_user_sgpr_kernarg_segment_ptr 1
		.amdhsa_user_sgpr_dispatch_id 0
		.amdhsa_user_sgpr_kernarg_preload_length 0
		.amdhsa_user_sgpr_kernarg_preload_offset 0
		.amdhsa_user_sgpr_private_segment_size 0
		.amdhsa_wavefront_size32 1
		.amdhsa_uses_dynamic_stack 0
		.amdhsa_enable_private_segment 0
		.amdhsa_system_sgpr_workgroup_id_x 1
		.amdhsa_system_sgpr_workgroup_id_y 0
		.amdhsa_system_sgpr_workgroup_id_z 0
		.amdhsa_system_sgpr_workgroup_info 0
		.amdhsa_system_vgpr_workitem_id 0
		.amdhsa_next_free_vgpr 11
		.amdhsa_next_free_sgpr 18
		.amdhsa_named_barrier_count 0
		.amdhsa_reserve_vcc 1
		.amdhsa_float_round_mode_32 0
		.amdhsa_float_round_mode_16_64 0
		.amdhsa_float_denorm_mode_32 3
		.amdhsa_float_denorm_mode_16_64 3
		.amdhsa_fp16_overflow 0
		.amdhsa_memory_ordered 1
		.amdhsa_forward_progress 1
		.amdhsa_inst_pref_size 4
		.amdhsa_round_robin_scheduling 0
		.amdhsa_exception_fp_ieee_invalid_op 0
		.amdhsa_exception_fp_denorm_src 0
		.amdhsa_exception_fp_ieee_div_zero 0
		.amdhsa_exception_fp_ieee_overflow 0
		.amdhsa_exception_fp_ieee_underflow 0
		.amdhsa_exception_fp_ieee_inexact 0
		.amdhsa_exception_int_div_zero 0
	.end_amdhsa_kernel
	.section	.text._ZN9rocsparseL13ellmvt_kernelILj1024Eif21rocsparse_complex_numIfES2_S2_EEv20rocsparse_operation_T0_S4_S4_NS_24const_host_device_scalarIT4_EEPKS4_PKT1_PKT2_PT3_21rocsparse_index_base_b,"axG",@progbits,_ZN9rocsparseL13ellmvt_kernelILj1024Eif21rocsparse_complex_numIfES2_S2_EEv20rocsparse_operation_T0_S4_S4_NS_24const_host_device_scalarIT4_EEPKS4_PKT1_PKT2_PT3_21rocsparse_index_base_b,comdat
.Lfunc_end33:
	.size	_ZN9rocsparseL13ellmvt_kernelILj1024Eif21rocsparse_complex_numIfES2_S2_EEv20rocsparse_operation_T0_S4_S4_NS_24const_host_device_scalarIT4_EEPKS4_PKT1_PKT2_PT3_21rocsparse_index_base_b, .Lfunc_end33-_ZN9rocsparseL13ellmvt_kernelILj1024Eif21rocsparse_complex_numIfES2_S2_EEv20rocsparse_operation_T0_S4_S4_NS_24const_host_device_scalarIT4_EEPKS4_PKT1_PKT2_PT3_21rocsparse_index_base_b
                                        ; -- End function
	.set _ZN9rocsparseL13ellmvt_kernelILj1024Eif21rocsparse_complex_numIfES2_S2_EEv20rocsparse_operation_T0_S4_S4_NS_24const_host_device_scalarIT4_EEPKS4_PKT1_PKT2_PT3_21rocsparse_index_base_b.num_vgpr, 11
	.set _ZN9rocsparseL13ellmvt_kernelILj1024Eif21rocsparse_complex_numIfES2_S2_EEv20rocsparse_operation_T0_S4_S4_NS_24const_host_device_scalarIT4_EEPKS4_PKT1_PKT2_PT3_21rocsparse_index_base_b.num_agpr, 0
	.set _ZN9rocsparseL13ellmvt_kernelILj1024Eif21rocsparse_complex_numIfES2_S2_EEv20rocsparse_operation_T0_S4_S4_NS_24const_host_device_scalarIT4_EEPKS4_PKT1_PKT2_PT3_21rocsparse_index_base_b.numbered_sgpr, 18
	.set _ZN9rocsparseL13ellmvt_kernelILj1024Eif21rocsparse_complex_numIfES2_S2_EEv20rocsparse_operation_T0_S4_S4_NS_24const_host_device_scalarIT4_EEPKS4_PKT1_PKT2_PT3_21rocsparse_index_base_b.num_named_barrier, 0
	.set _ZN9rocsparseL13ellmvt_kernelILj1024Eif21rocsparse_complex_numIfES2_S2_EEv20rocsparse_operation_T0_S4_S4_NS_24const_host_device_scalarIT4_EEPKS4_PKT1_PKT2_PT3_21rocsparse_index_base_b.private_seg_size, 0
	.set _ZN9rocsparseL13ellmvt_kernelILj1024Eif21rocsparse_complex_numIfES2_S2_EEv20rocsparse_operation_T0_S4_S4_NS_24const_host_device_scalarIT4_EEPKS4_PKT1_PKT2_PT3_21rocsparse_index_base_b.uses_vcc, 1
	.set _ZN9rocsparseL13ellmvt_kernelILj1024Eif21rocsparse_complex_numIfES2_S2_EEv20rocsparse_operation_T0_S4_S4_NS_24const_host_device_scalarIT4_EEPKS4_PKT1_PKT2_PT3_21rocsparse_index_base_b.uses_flat_scratch, 0
	.set _ZN9rocsparseL13ellmvt_kernelILj1024Eif21rocsparse_complex_numIfES2_S2_EEv20rocsparse_operation_T0_S4_S4_NS_24const_host_device_scalarIT4_EEPKS4_PKT1_PKT2_PT3_21rocsparse_index_base_b.has_dyn_sized_stack, 0
	.set _ZN9rocsparseL13ellmvt_kernelILj1024Eif21rocsparse_complex_numIfES2_S2_EEv20rocsparse_operation_T0_S4_S4_NS_24const_host_device_scalarIT4_EEPKS4_PKT1_PKT2_PT3_21rocsparse_index_base_b.has_recursion, 0
	.set _ZN9rocsparseL13ellmvt_kernelILj1024Eif21rocsparse_complex_numIfES2_S2_EEv20rocsparse_operation_T0_S4_S4_NS_24const_host_device_scalarIT4_EEPKS4_PKT1_PKT2_PT3_21rocsparse_index_base_b.has_indirect_call, 0
	.section	.AMDGPU.csdata,"",@progbits
; Kernel info:
; codeLenInByte = 484
; TotalNumSgprs: 20
; NumVgprs: 11
; ScratchSize: 0
; MemoryBound: 0
; FloatMode: 240
; IeeeMode: 1
; LDSByteSize: 0 bytes/workgroup (compile time only)
; SGPRBlocks: 0
; VGPRBlocks: 0
; NumSGPRsForWavesPerEU: 20
; NumVGPRsForWavesPerEU: 11
; NamedBarCnt: 0
; Occupancy: 16
; WaveLimiterHint : 1
; COMPUTE_PGM_RSRC2:SCRATCH_EN: 0
; COMPUTE_PGM_RSRC2:USER_SGPR: 2
; COMPUTE_PGM_RSRC2:TRAP_HANDLER: 0
; COMPUTE_PGM_RSRC2:TGID_X_EN: 1
; COMPUTE_PGM_RSRC2:TGID_Y_EN: 0
; COMPUTE_PGM_RSRC2:TGID_Z_EN: 0
; COMPUTE_PGM_RSRC2:TIDIG_COMP_CNT: 0
	.section	.text._ZN9rocsparseL13ellmvn_kernelILj512Elf21rocsparse_complex_numIfES2_S2_EEvT0_S3_S3_NS_24const_host_device_scalarIT4_EEPKS3_PKT1_PKT2_S6_PT3_21rocsparse_index_base_b,"axG",@progbits,_ZN9rocsparseL13ellmvn_kernelILj512Elf21rocsparse_complex_numIfES2_S2_EEvT0_S3_S3_NS_24const_host_device_scalarIT4_EEPKS3_PKT1_PKT2_S6_PT3_21rocsparse_index_base_b,comdat
	.globl	_ZN9rocsparseL13ellmvn_kernelILj512Elf21rocsparse_complex_numIfES2_S2_EEvT0_S3_S3_NS_24const_host_device_scalarIT4_EEPKS3_PKT1_PKT2_S6_PT3_21rocsparse_index_base_b ; -- Begin function _ZN9rocsparseL13ellmvn_kernelILj512Elf21rocsparse_complex_numIfES2_S2_EEvT0_S3_S3_NS_24const_host_device_scalarIT4_EEPKS3_PKT1_PKT2_S6_PT3_21rocsparse_index_base_b
	.p2align	8
	.type	_ZN9rocsparseL13ellmvn_kernelILj512Elf21rocsparse_complex_numIfES2_S2_EEvT0_S3_S3_NS_24const_host_device_scalarIT4_EEPKS3_PKT1_PKT2_S6_PT3_21rocsparse_index_base_b,@function
_ZN9rocsparseL13ellmvn_kernelILj512Elf21rocsparse_complex_numIfES2_S2_EEvT0_S3_S3_NS_24const_host_device_scalarIT4_EEPKS3_PKT1_PKT2_S6_PT3_21rocsparse_index_base_b: ; @_ZN9rocsparseL13ellmvn_kernelILj512Elf21rocsparse_complex_numIfES2_S2_EEvT0_S3_S3_NS_24const_host_device_scalarIT4_EEPKS3_PKT1_PKT2_S6_PT3_21rocsparse_index_base_b
; %bb.0:
	s_clause 0x2
	s_load_b64 s[6:7], s[0:1], 0x48
	s_load_b256 s[8:15], s[0:1], 0x0
	s_load_b64 s[2:3], s[0:1], 0x38
	v_mov_b32_e32 v1, 0
	s_add_nc_u64 s[4:5], s[0:1], 24
	s_add_nc_u64 s[16:17], s[0:1], 56
	s_wait_kmcnt 0x0
	s_bitcmp1_b32 s7, 0
	s_cselect_b32 s5, s5, s15
	s_cselect_b32 s4, s4, s14
	;; [unrolled: 1-line block ×4, first 2 shown]
	s_clause 0x1
	flat_load_b64 v[2:3], v1, s[4:5]
	flat_load_b64 v[4:5], v1, s[2:3]
	s_wait_loadcnt_dscnt 0x101
	v_cmp_neq_f32_e32 vcc_lo, 0, v2
	s_wait_xcnt 0x0
	v_cmp_neq_f32_e64 s3, 0, v3
	s_wait_loadcnt_dscnt 0x0
	v_cmp_neq_f32_e64 s4, 1.0, v4
	v_cmp_neq_f32_e64 s2, 0, v5
	s_or_b32 s3, vcc_lo, s3
	s_or_b32 s4, s4, s2
	s_delay_alu instid0(SALU_CYCLE_1) | instskip(NEXT) | instid1(SALU_CYCLE_1)
	s_or_b32 s3, s3, s4
	s_and_saveexec_b32 s4, s3
	s_cbranch_execz .LBB34_13
; %bb.1:
	s_bfe_u32 s3, ttmp6, 0x4000c
	s_and_b32 s4, ttmp6, 15
	s_add_co_i32 s3, s3, 1
	s_getreg_b32 s5, hwreg(HW_REG_IB_STS2, 6, 4)
	s_mul_i32 s3, ttmp9, s3
	s_delay_alu instid0(SALU_CYCLE_1) | instskip(SKIP_2) | instid1(SALU_CYCLE_1)
	s_add_co_i32 s4, s4, s3
	s_cmp_eq_u32 s5, 0
	s_cselect_b32 s3, ttmp9, s4
	v_lshl_or_b32 v0, s3, 9, v0
	s_delay_alu instid0(VALU_DEP_1)
	v_cmp_gt_i64_e32 vcc_lo, s[8:9], v[0:1]
	s_and_b32 exec_lo, exec_lo, vcc_lo
	s_cbranch_execz .LBB34_13
; %bb.2:
	v_cmp_lt_i64_e64 s3, s[12:13], 1
	s_and_b32 vcc_lo, exec_lo, s3
	s_cbranch_vccnz .LBB34_8
; %bb.3:
	s_clause 0x1
	s_load_b128 s[16:19], s[0:1], 0x20
	s_load_b64 s[4:5], s[0:1], 0x30
	v_dual_mov_b32 v8, 0 :: v_dual_mov_b32 v6, 0
	v_bfrev_b32_e32 v11, 1
	s_mov_b32 s7, 0
	s_lshl_b64 s[14:15], s[8:9], 3
	s_delay_alu instid0(VALU_DEP_2)
	v_mov_b32_e32 v7, v8
	s_lshl_b64 s[8:9], s[8:9], 2
	s_wait_kmcnt 0x0
	v_lshl_add_u64 v[12:13], v[0:1], 3, s[16:17]
	v_lshl_add_u64 v[14:15], v[0:1], 2, s[18:19]
	s_mov_b32 s16, s7
                                        ; implicit-def: $sgpr17
	s_branch .LBB34_5
.LBB34_4:                               ;   in Loop: Header=BB34_5 Depth=1
	s_or_b32 exec_lo, exec_lo, s3
	s_delay_alu instid0(SALU_CYCLE_1) | instskip(NEXT) | instid1(SALU_CYCLE_1)
	s_and_b32 s3, exec_lo, s17
	s_or_b32 s16, s3, s16
	s_delay_alu instid0(SALU_CYCLE_1)
	s_and_not1_b32 exec_lo, exec_lo, s16
	s_cbranch_execz .LBB34_7
.LBB34_5:                               ; =>This Inner Loop Header: Depth=1
	global_load_b64 v[16:17], v[12:13], off th:TH_LOAD_NT
	s_or_b32 s17, s17, exec_lo
	s_wait_loadcnt 0x0
	v_sub_nc_u64_e64 v[16:17], v[16:17], s[6:7]
	s_delay_alu instid0(VALU_DEP_1) | instskip(SKIP_2) | instid1(SALU_CYCLE_1)
	v_cmp_lt_i64_e32 vcc_lo, -1, v[16:17]
	v_cmp_gt_i64_e64 s3, s[10:11], v[16:17]
	s_and_b32 s18, vcc_lo, s3
	s_and_saveexec_b32 s3, s18
	s_cbranch_execz .LBB34_4
; %bb.6:                                ;   in Loop: Header=BB34_5 Depth=1
	v_lshl_add_u64 v[16:17], v[16:17], 3, s[4:5]
	s_add_nc_u64 s[12:13], s[12:13], -1
	v_add_nc_u64_e32 v[12:13], s[14:15], v[12:13]
	s_cmp_eq_u64 s[12:13], 0
	global_load_b32 v9, v[14:15], off th:TH_LOAD_NT
	global_load_b64 v[18:19], v[16:17], off
	s_wait_xcnt 0x1
	v_add_nc_u64_e32 v[14:15], s[8:9], v[14:15]
	s_cselect_b32 s18, -1, 0
	s_and_not1_b32 s17, s17, exec_lo
	s_and_b32 s18, s18, exec_lo
	s_delay_alu instid0(SALU_CYCLE_1) | instskip(SKIP_4) | instid1(VALU_DEP_1)
	s_or_b32 s17, s17, s18
	s_wait_loadcnt 0x1
	v_mov_b32_e32 v10, v9
	s_wait_loadcnt 0x0
	v_pk_fma_f32 v[6:7], v[18:19], v[8:9], v[6:7] op_sel_hi:[0,1,1]
	v_pk_fma_f32 v[6:7], v[18:19], v[10:11], v[6:7] op_sel:[1,0,0]
	s_branch .LBB34_4
.LBB34_7:
	s_or_b32 exec_lo, exec_lo, s16
	s_branch .LBB34_9
.LBB34_8:
	v_mov_b32_e32 v7, 0
	s_delay_alu instid0(VALU_DEP_1)
	v_mov_b32_e32 v6, v7
.LBB34_9:
	s_load_b64 s[0:1], s[0:1], 0x40
	v_cmp_eq_f32_e32 vcc_lo, 0, v4
	s_xor_b32 s2, s2, -1
	s_delay_alu instid0(SALU_CYCLE_1) | instskip(NEXT) | instid1(SALU_CYCLE_1)
	s_and_b32 s2, vcc_lo, s2
	s_and_saveexec_b32 s3, s2
	s_delay_alu instid0(SALU_CYCLE_1)
	s_xor_b32 s2, exec_lo, s3
	s_cbranch_execz .LBB34_11
; %bb.10:
	v_xor_b32_e32 v4, 0x80000000, v3
	v_mov_b32_e32 v5, v2
	s_wait_kmcnt 0x0
	v_lshl_add_u64 v[0:1], v[0:1], 3, s[0:1]
	s_delay_alu instid0(VALU_DEP_2) | instskip(NEXT) | instid1(VALU_DEP_1)
	v_pk_mul_f32 v[4:5], v[6:7], v[4:5] op_sel_hi:[0,1]
	v_pk_fma_f32 v[2:3], v[2:3], v[6:7], v[4:5] op_sel:[0,1,0]
                                        ; implicit-def: $vgpr4_vgpr5
                                        ; implicit-def: $vgpr6_vgpr7
	global_store_b64 v[0:1], v[2:3], off th:TH_STORE_NT
                                        ; implicit-def: $vgpr0_vgpr1
                                        ; implicit-def: $vgpr2_vgpr3
.LBB34_11:
	s_wait_xcnt 0x0
	s_and_not1_saveexec_b32 s2, s2
	s_cbranch_execz .LBB34_13
; %bb.12:
	s_wait_kmcnt 0x0
	v_lshl_add_u64 v[0:1], v[0:1], 3, s[0:1]
	v_xor_b32_e32 v10, 0x80000000, v3
	v_mov_b32_e32 v11, v2
	global_load_b64 v[8:9], v[0:1], off th:TH_LOAD_NT
	v_pk_mul_f32 v[10:11], v[6:7], v[10:11] op_sel_hi:[0,1]
	s_delay_alu instid0(VALU_DEP_1) | instskip(SKIP_3) | instid1(VALU_DEP_3)
	v_pk_fma_f32 v[2:3], v[2:3], v[6:7], v[10:11] op_sel:[0,1,0]
	v_xor_b32_e32 v6, 0x80000000, v5
	v_mov_b32_e32 v7, v4
	s_wait_loadcnt 0x0
	v_pk_fma_f32 v[2:3], v[4:5], v[8:9], v[2:3] op_sel_hi:[1,0,1]
	s_delay_alu instid0(VALU_DEP_1)
	v_pk_fma_f32 v[2:3], v[6:7], v[8:9], v[2:3] op_sel:[0,1,0]
	global_store_b64 v[0:1], v[2:3], off th:TH_STORE_NT
.LBB34_13:
	s_endpgm
	.section	.rodata,"a",@progbits
	.p2align	6, 0x0
	.amdhsa_kernel _ZN9rocsparseL13ellmvn_kernelILj512Elf21rocsparse_complex_numIfES2_S2_EEvT0_S3_S3_NS_24const_host_device_scalarIT4_EEPKS3_PKT1_PKT2_S6_PT3_21rocsparse_index_base_b
		.amdhsa_group_segment_fixed_size 0
		.amdhsa_private_segment_fixed_size 0
		.amdhsa_kernarg_size 80
		.amdhsa_user_sgpr_count 2
		.amdhsa_user_sgpr_dispatch_ptr 0
		.amdhsa_user_sgpr_queue_ptr 0
		.amdhsa_user_sgpr_kernarg_segment_ptr 1
		.amdhsa_user_sgpr_dispatch_id 0
		.amdhsa_user_sgpr_kernarg_preload_length 0
		.amdhsa_user_sgpr_kernarg_preload_offset 0
		.amdhsa_user_sgpr_private_segment_size 0
		.amdhsa_wavefront_size32 1
		.amdhsa_uses_dynamic_stack 0
		.amdhsa_enable_private_segment 0
		.amdhsa_system_sgpr_workgroup_id_x 1
		.amdhsa_system_sgpr_workgroup_id_y 0
		.amdhsa_system_sgpr_workgroup_id_z 0
		.amdhsa_system_sgpr_workgroup_info 0
		.amdhsa_system_vgpr_workitem_id 0
		.amdhsa_next_free_vgpr 20
		.amdhsa_next_free_sgpr 20
		.amdhsa_named_barrier_count 0
		.amdhsa_reserve_vcc 1
		.amdhsa_float_round_mode_32 0
		.amdhsa_float_round_mode_16_64 0
		.amdhsa_float_denorm_mode_32 3
		.amdhsa_float_denorm_mode_16_64 3
		.amdhsa_fp16_overflow 0
		.amdhsa_memory_ordered 1
		.amdhsa_forward_progress 1
		.amdhsa_inst_pref_size 6
		.amdhsa_round_robin_scheduling 0
		.amdhsa_exception_fp_ieee_invalid_op 0
		.amdhsa_exception_fp_denorm_src 0
		.amdhsa_exception_fp_ieee_div_zero 0
		.amdhsa_exception_fp_ieee_overflow 0
		.amdhsa_exception_fp_ieee_underflow 0
		.amdhsa_exception_fp_ieee_inexact 0
		.amdhsa_exception_int_div_zero 0
	.end_amdhsa_kernel
	.section	.text._ZN9rocsparseL13ellmvn_kernelILj512Elf21rocsparse_complex_numIfES2_S2_EEvT0_S3_S3_NS_24const_host_device_scalarIT4_EEPKS3_PKT1_PKT2_S6_PT3_21rocsparse_index_base_b,"axG",@progbits,_ZN9rocsparseL13ellmvn_kernelILj512Elf21rocsparse_complex_numIfES2_S2_EEvT0_S3_S3_NS_24const_host_device_scalarIT4_EEPKS3_PKT1_PKT2_S6_PT3_21rocsparse_index_base_b,comdat
.Lfunc_end34:
	.size	_ZN9rocsparseL13ellmvn_kernelILj512Elf21rocsparse_complex_numIfES2_S2_EEvT0_S3_S3_NS_24const_host_device_scalarIT4_EEPKS3_PKT1_PKT2_S6_PT3_21rocsparse_index_base_b, .Lfunc_end34-_ZN9rocsparseL13ellmvn_kernelILj512Elf21rocsparse_complex_numIfES2_S2_EEvT0_S3_S3_NS_24const_host_device_scalarIT4_EEPKS3_PKT1_PKT2_S6_PT3_21rocsparse_index_base_b
                                        ; -- End function
	.set _ZN9rocsparseL13ellmvn_kernelILj512Elf21rocsparse_complex_numIfES2_S2_EEvT0_S3_S3_NS_24const_host_device_scalarIT4_EEPKS3_PKT1_PKT2_S6_PT3_21rocsparse_index_base_b.num_vgpr, 20
	.set _ZN9rocsparseL13ellmvn_kernelILj512Elf21rocsparse_complex_numIfES2_S2_EEvT0_S3_S3_NS_24const_host_device_scalarIT4_EEPKS3_PKT1_PKT2_S6_PT3_21rocsparse_index_base_b.num_agpr, 0
	.set _ZN9rocsparseL13ellmvn_kernelILj512Elf21rocsparse_complex_numIfES2_S2_EEvT0_S3_S3_NS_24const_host_device_scalarIT4_EEPKS3_PKT1_PKT2_S6_PT3_21rocsparse_index_base_b.numbered_sgpr, 20
	.set _ZN9rocsparseL13ellmvn_kernelILj512Elf21rocsparse_complex_numIfES2_S2_EEvT0_S3_S3_NS_24const_host_device_scalarIT4_EEPKS3_PKT1_PKT2_S6_PT3_21rocsparse_index_base_b.num_named_barrier, 0
	.set _ZN9rocsparseL13ellmvn_kernelILj512Elf21rocsparse_complex_numIfES2_S2_EEvT0_S3_S3_NS_24const_host_device_scalarIT4_EEPKS3_PKT1_PKT2_S6_PT3_21rocsparse_index_base_b.private_seg_size, 0
	.set _ZN9rocsparseL13ellmvn_kernelILj512Elf21rocsparse_complex_numIfES2_S2_EEvT0_S3_S3_NS_24const_host_device_scalarIT4_EEPKS3_PKT1_PKT2_S6_PT3_21rocsparse_index_base_b.uses_vcc, 1
	.set _ZN9rocsparseL13ellmvn_kernelILj512Elf21rocsparse_complex_numIfES2_S2_EEvT0_S3_S3_NS_24const_host_device_scalarIT4_EEPKS3_PKT1_PKT2_S6_PT3_21rocsparse_index_base_b.uses_flat_scratch, 1
	.set _ZN9rocsparseL13ellmvn_kernelILj512Elf21rocsparse_complex_numIfES2_S2_EEvT0_S3_S3_NS_24const_host_device_scalarIT4_EEPKS3_PKT1_PKT2_S6_PT3_21rocsparse_index_base_b.has_dyn_sized_stack, 0
	.set _ZN9rocsparseL13ellmvn_kernelILj512Elf21rocsparse_complex_numIfES2_S2_EEvT0_S3_S3_NS_24const_host_device_scalarIT4_EEPKS3_PKT1_PKT2_S6_PT3_21rocsparse_index_base_b.has_recursion, 0
	.set _ZN9rocsparseL13ellmvn_kernelILj512Elf21rocsparse_complex_numIfES2_S2_EEvT0_S3_S3_NS_24const_host_device_scalarIT4_EEPKS3_PKT1_PKT2_S6_PT3_21rocsparse_index_base_b.has_indirect_call, 0
	.section	.AMDGPU.csdata,"",@progbits
; Kernel info:
; codeLenInByte = 744
; TotalNumSgprs: 22
; NumVgprs: 20
; ScratchSize: 0
; MemoryBound: 0
; FloatMode: 240
; IeeeMode: 1
; LDSByteSize: 0 bytes/workgroup (compile time only)
; SGPRBlocks: 0
; VGPRBlocks: 1
; NumSGPRsForWavesPerEU: 22
; NumVGPRsForWavesPerEU: 20
; NamedBarCnt: 0
; Occupancy: 16
; WaveLimiterHint : 1
; COMPUTE_PGM_RSRC2:SCRATCH_EN: 0
; COMPUTE_PGM_RSRC2:USER_SGPR: 2
; COMPUTE_PGM_RSRC2:TRAP_HANDLER: 0
; COMPUTE_PGM_RSRC2:TGID_X_EN: 1
; COMPUTE_PGM_RSRC2:TGID_Y_EN: 0
; COMPUTE_PGM_RSRC2:TGID_Z_EN: 0
; COMPUTE_PGM_RSRC2:TIDIG_COMP_CNT: 0
	.section	.text._ZN9rocsparseL13ellmvt_kernelILj1024Elf21rocsparse_complex_numIfES2_S2_EEv20rocsparse_operation_T0_S4_S4_NS_24const_host_device_scalarIT4_EEPKS4_PKT1_PKT2_PT3_21rocsparse_index_base_b,"axG",@progbits,_ZN9rocsparseL13ellmvt_kernelILj1024Elf21rocsparse_complex_numIfES2_S2_EEv20rocsparse_operation_T0_S4_S4_NS_24const_host_device_scalarIT4_EEPKS4_PKT1_PKT2_PT3_21rocsparse_index_base_b,comdat
	.globl	_ZN9rocsparseL13ellmvt_kernelILj1024Elf21rocsparse_complex_numIfES2_S2_EEv20rocsparse_operation_T0_S4_S4_NS_24const_host_device_scalarIT4_EEPKS4_PKT1_PKT2_PT3_21rocsparse_index_base_b ; -- Begin function _ZN9rocsparseL13ellmvt_kernelILj1024Elf21rocsparse_complex_numIfES2_S2_EEv20rocsparse_operation_T0_S4_S4_NS_24const_host_device_scalarIT4_EEPKS4_PKT1_PKT2_PT3_21rocsparse_index_base_b
	.p2align	8
	.type	_ZN9rocsparseL13ellmvt_kernelILj1024Elf21rocsparse_complex_numIfES2_S2_EEv20rocsparse_operation_T0_S4_S4_NS_24const_host_device_scalarIT4_EEPKS4_PKT1_PKT2_PT3_21rocsparse_index_base_b,@function
_ZN9rocsparseL13ellmvt_kernelILj1024Elf21rocsparse_complex_numIfES2_S2_EEv20rocsparse_operation_T0_S4_S4_NS_24const_host_device_scalarIT4_EEPKS4_PKT1_PKT2_PT3_21rocsparse_index_base_b: ; @_ZN9rocsparseL13ellmvt_kernelILj1024Elf21rocsparse_complex_numIfES2_S2_EEv20rocsparse_operation_T0_S4_S4_NS_24const_host_device_scalarIT4_EEPKS4_PKT1_PKT2_PT3_21rocsparse_index_base_b
; %bb.0:
	s_clause 0x1
	s_load_b64 s[20:21], s[0:1], 0x48
	s_load_b256 s[4:11], s[0:1], 0x8
	v_mov_b32_e32 v1, 0
	s_add_nc_u64 s[2:3], s[0:1], 32
	s_wait_kmcnt 0x0
	s_bitcmp1_b32 s21, 0
	s_cselect_b32 s3, s3, s11
	s_cselect_b32 s2, s2, s10
	flat_load_b64 v[2:3], v1, s[2:3]
	s_wait_loadcnt_dscnt 0x0
	v_cmp_neq_f32_e32 vcc_lo, 0, v2
	v_cmp_neq_f32_e64 s2, 0, v3
	s_or_b32 s2, vcc_lo, s2
	s_delay_alu instid0(SALU_CYCLE_1)
	s_and_saveexec_b32 s3, s2
	s_cbranch_execz .LBB35_7
; %bb.1:
	s_bfe_u32 s2, ttmp6, 0x4000c
	s_and_b32 s3, ttmp6, 15
	s_add_co_i32 s2, s2, 1
	s_getreg_b32 s10, hwreg(HW_REG_IB_STS2, 6, 4)
	s_mul_i32 s2, ttmp9, s2
	s_delay_alu instid0(SALU_CYCLE_1) | instskip(SKIP_2) | instid1(SALU_CYCLE_1)
	s_add_co_i32 s3, s3, s2
	s_cmp_eq_u32 s10, 0
	s_cselect_b32 s2, ttmp9, s3
	v_lshl_or_b32 v0, s2, 10, v0
	s_delay_alu instid0(VALU_DEP_1)
	v_cmp_gt_i64_e32 vcc_lo, s[4:5], v[0:1]
	s_and_b32 exec_lo, exec_lo, vcc_lo
	s_cbranch_execz .LBB35_7
; %bb.2:
	v_cmp_lt_i64_e64 s2, s[8:9], 1
	s_and_b32 vcc_lo, exec_lo, s2
	s_cbranch_vccnz .LBB35_7
; %bb.3:
	s_load_b256 s[12:19], s[0:1], 0x28
	v_lshlrev_b64_e32 v[4:5], 3, v[0:1]
	s_mov_b32 s21, 0
	s_lshl_b64 s[2:3], s[4:5], 3
	s_lshl_b64 s[4:5], s[4:5], 2
	s_wait_xcnt 0x0
	s_mov_b32 s1, s21
                                        ; implicit-def: $sgpr10
	s_wait_kmcnt 0x0
	v_add_nc_u64_e32 v[6:7], s[16:17], v[4:5]
	v_lshl_add_u64 v[0:1], v[0:1], 2, s[14:15]
	global_load_b64 v[8:9], v[6:7], off
	s_wait_loadcnt 0x0
	v_dual_mul_f32 v6, v2, v9 :: v_dual_mul_f32 v7, v9, -v3
	s_delay_alu instid0(VALU_DEP_1) | instskip(SKIP_1) | instid1(VALU_DEP_2)
	v_dual_fmac_f32 v6, v3, v8 :: v_dual_fmac_f32 v7, v2, v8
	v_add_nc_u64_e32 v[2:3], s[12:13], v[4:5]
	v_dual_mul_f32 v8, 0x80000000, v6 :: v_dual_mul_f32 v9, 0, v7
	s_branch .LBB35_5
.LBB35_4:                               ;   in Loop: Header=BB35_5 Depth=1
	s_wait_xcnt 0x0
	s_or_b32 exec_lo, exec_lo, s0
	s_delay_alu instid0(SALU_CYCLE_1) | instskip(NEXT) | instid1(SALU_CYCLE_1)
	s_and_b32 s0, exec_lo, s10
	s_or_b32 s1, s0, s1
	s_delay_alu instid0(SALU_CYCLE_1)
	s_and_not1_b32 exec_lo, exec_lo, s1
	s_cbranch_execz .LBB35_7
.LBB35_5:                               ; =>This Inner Loop Header: Depth=1
	global_load_b64 v[4:5], v[2:3], off th:TH_LOAD_NT
	s_or_b32 s10, s10, exec_lo
	s_wait_loadcnt 0x0
	v_sub_nc_u64_e64 v[4:5], v[4:5], s[20:21]
	s_delay_alu instid0(VALU_DEP_1)
	v_cmp_lt_i64_e32 vcc_lo, -1, v[4:5]
	v_cmp_gt_i64_e64 s0, s[6:7], v[4:5]
	s_and_b32 s11, vcc_lo, s0
	s_wait_xcnt 0x0
	s_and_saveexec_b32 s0, s11
	s_cbranch_execz .LBB35_4
; %bb.6:                                ;   in Loop: Header=BB35_5 Depth=1
	global_load_b32 v10, v[0:1], off th:TH_LOAD_NT
	v_lshl_add_u64 v[4:5], v[4:5], 3, s[18:19]
	s_add_nc_u64 s[8:9], s[8:9], -1
	v_add_nc_u64_e32 v[2:3], s[2:3], v[2:3]
	s_cmp_eq_u64 s[8:9], 0
	s_wait_xcnt 0x0
	v_add_nc_u64_e32 v[0:1], s[4:5], v[0:1]
	s_cselect_b32 s11, -1, 0
	s_and_not1_b32 s10, s10, exec_lo
	s_and_b32 s11, s11, exec_lo
	s_delay_alu instid0(SALU_CYCLE_1)
	s_or_b32 s10, s10, s11
	s_wait_loadcnt 0x0
	v_dual_fma_f32 v11, v7, v10, v8 :: v_dual_fma_f32 v10, v6, v10, v9
	global_atomic_add_f32 v[4:5], v11, off scope:SCOPE_DEV
	s_wait_xcnt 0x0
	global_atomic_add_f32 v[4:5], v10, off offset:4 scope:SCOPE_DEV
	s_branch .LBB35_4
.LBB35_7:
	s_endpgm
	.section	.rodata,"a",@progbits
	.p2align	6, 0x0
	.amdhsa_kernel _ZN9rocsparseL13ellmvt_kernelILj1024Elf21rocsparse_complex_numIfES2_S2_EEv20rocsparse_operation_T0_S4_S4_NS_24const_host_device_scalarIT4_EEPKS4_PKT1_PKT2_PT3_21rocsparse_index_base_b
		.amdhsa_group_segment_fixed_size 0
		.amdhsa_private_segment_fixed_size 0
		.amdhsa_kernarg_size 80
		.amdhsa_user_sgpr_count 2
		.amdhsa_user_sgpr_dispatch_ptr 0
		.amdhsa_user_sgpr_queue_ptr 0
		.amdhsa_user_sgpr_kernarg_segment_ptr 1
		.amdhsa_user_sgpr_dispatch_id 0
		.amdhsa_user_sgpr_kernarg_preload_length 0
		.amdhsa_user_sgpr_kernarg_preload_offset 0
		.amdhsa_user_sgpr_private_segment_size 0
		.amdhsa_wavefront_size32 1
		.amdhsa_uses_dynamic_stack 0
		.amdhsa_enable_private_segment 0
		.amdhsa_system_sgpr_workgroup_id_x 1
		.amdhsa_system_sgpr_workgroup_id_y 0
		.amdhsa_system_sgpr_workgroup_id_z 0
		.amdhsa_system_sgpr_workgroup_info 0
		.amdhsa_system_vgpr_workitem_id 0
		.amdhsa_next_free_vgpr 12
		.amdhsa_next_free_sgpr 22
		.amdhsa_named_barrier_count 0
		.amdhsa_reserve_vcc 1
		.amdhsa_float_round_mode_32 0
		.amdhsa_float_round_mode_16_64 0
		.amdhsa_float_denorm_mode_32 3
		.amdhsa_float_denorm_mode_16_64 3
		.amdhsa_fp16_overflow 0
		.amdhsa_memory_ordered 1
		.amdhsa_forward_progress 1
		.amdhsa_inst_pref_size 4
		.amdhsa_round_robin_scheduling 0
		.amdhsa_exception_fp_ieee_invalid_op 0
		.amdhsa_exception_fp_denorm_src 0
		.amdhsa_exception_fp_ieee_div_zero 0
		.amdhsa_exception_fp_ieee_overflow 0
		.amdhsa_exception_fp_ieee_underflow 0
		.amdhsa_exception_fp_ieee_inexact 0
		.amdhsa_exception_int_div_zero 0
	.end_amdhsa_kernel
	.section	.text._ZN9rocsparseL13ellmvt_kernelILj1024Elf21rocsparse_complex_numIfES2_S2_EEv20rocsparse_operation_T0_S4_S4_NS_24const_host_device_scalarIT4_EEPKS4_PKT1_PKT2_PT3_21rocsparse_index_base_b,"axG",@progbits,_ZN9rocsparseL13ellmvt_kernelILj1024Elf21rocsparse_complex_numIfES2_S2_EEv20rocsparse_operation_T0_S4_S4_NS_24const_host_device_scalarIT4_EEPKS4_PKT1_PKT2_PT3_21rocsparse_index_base_b,comdat
.Lfunc_end35:
	.size	_ZN9rocsparseL13ellmvt_kernelILj1024Elf21rocsparse_complex_numIfES2_S2_EEv20rocsparse_operation_T0_S4_S4_NS_24const_host_device_scalarIT4_EEPKS4_PKT1_PKT2_PT3_21rocsparse_index_base_b, .Lfunc_end35-_ZN9rocsparseL13ellmvt_kernelILj1024Elf21rocsparse_complex_numIfES2_S2_EEv20rocsparse_operation_T0_S4_S4_NS_24const_host_device_scalarIT4_EEPKS4_PKT1_PKT2_PT3_21rocsparse_index_base_b
                                        ; -- End function
	.set _ZN9rocsparseL13ellmvt_kernelILj1024Elf21rocsparse_complex_numIfES2_S2_EEv20rocsparse_operation_T0_S4_S4_NS_24const_host_device_scalarIT4_EEPKS4_PKT1_PKT2_PT3_21rocsparse_index_base_b.num_vgpr, 12
	.set _ZN9rocsparseL13ellmvt_kernelILj1024Elf21rocsparse_complex_numIfES2_S2_EEv20rocsparse_operation_T0_S4_S4_NS_24const_host_device_scalarIT4_EEPKS4_PKT1_PKT2_PT3_21rocsparse_index_base_b.num_agpr, 0
	.set _ZN9rocsparseL13ellmvt_kernelILj1024Elf21rocsparse_complex_numIfES2_S2_EEv20rocsparse_operation_T0_S4_S4_NS_24const_host_device_scalarIT4_EEPKS4_PKT1_PKT2_PT3_21rocsparse_index_base_b.numbered_sgpr, 22
	.set _ZN9rocsparseL13ellmvt_kernelILj1024Elf21rocsparse_complex_numIfES2_S2_EEv20rocsparse_operation_T0_S4_S4_NS_24const_host_device_scalarIT4_EEPKS4_PKT1_PKT2_PT3_21rocsparse_index_base_b.num_named_barrier, 0
	.set _ZN9rocsparseL13ellmvt_kernelILj1024Elf21rocsparse_complex_numIfES2_S2_EEv20rocsparse_operation_T0_S4_S4_NS_24const_host_device_scalarIT4_EEPKS4_PKT1_PKT2_PT3_21rocsparse_index_base_b.private_seg_size, 0
	.set _ZN9rocsparseL13ellmvt_kernelILj1024Elf21rocsparse_complex_numIfES2_S2_EEv20rocsparse_operation_T0_S4_S4_NS_24const_host_device_scalarIT4_EEPKS4_PKT1_PKT2_PT3_21rocsparse_index_base_b.uses_vcc, 1
	.set _ZN9rocsparseL13ellmvt_kernelILj1024Elf21rocsparse_complex_numIfES2_S2_EEv20rocsparse_operation_T0_S4_S4_NS_24const_host_device_scalarIT4_EEPKS4_PKT1_PKT2_PT3_21rocsparse_index_base_b.uses_flat_scratch, 0
	.set _ZN9rocsparseL13ellmvt_kernelILj1024Elf21rocsparse_complex_numIfES2_S2_EEv20rocsparse_operation_T0_S4_S4_NS_24const_host_device_scalarIT4_EEPKS4_PKT1_PKT2_PT3_21rocsparse_index_base_b.has_dyn_sized_stack, 0
	.set _ZN9rocsparseL13ellmvt_kernelILj1024Elf21rocsparse_complex_numIfES2_S2_EEv20rocsparse_operation_T0_S4_S4_NS_24const_host_device_scalarIT4_EEPKS4_PKT1_PKT2_PT3_21rocsparse_index_base_b.has_recursion, 0
	.set _ZN9rocsparseL13ellmvt_kernelILj1024Elf21rocsparse_complex_numIfES2_S2_EEv20rocsparse_operation_T0_S4_S4_NS_24const_host_device_scalarIT4_EEPKS4_PKT1_PKT2_PT3_21rocsparse_index_base_b.has_indirect_call, 0
	.section	.AMDGPU.csdata,"",@progbits
; Kernel info:
; codeLenInByte = 480
; TotalNumSgprs: 24
; NumVgprs: 12
; ScratchSize: 0
; MemoryBound: 0
; FloatMode: 240
; IeeeMode: 1
; LDSByteSize: 0 bytes/workgroup (compile time only)
; SGPRBlocks: 0
; VGPRBlocks: 0
; NumSGPRsForWavesPerEU: 24
; NumVGPRsForWavesPerEU: 12
; NamedBarCnt: 0
; Occupancy: 16
; WaveLimiterHint : 1
; COMPUTE_PGM_RSRC2:SCRATCH_EN: 0
; COMPUTE_PGM_RSRC2:USER_SGPR: 2
; COMPUTE_PGM_RSRC2:TRAP_HANDLER: 0
; COMPUTE_PGM_RSRC2:TGID_X_EN: 1
; COMPUTE_PGM_RSRC2:TGID_Y_EN: 0
; COMPUTE_PGM_RSRC2:TGID_Z_EN: 0
; COMPUTE_PGM_RSRC2:TIDIG_COMP_CNT: 0
	.section	.text._ZN9rocsparseL13ellmvn_kernelILj512Eid21rocsparse_complex_numIdES2_S2_EEvT0_S3_S3_NS_24const_host_device_scalarIT4_EEPKS3_PKT1_PKT2_S6_PT3_21rocsparse_index_base_b,"axG",@progbits,_ZN9rocsparseL13ellmvn_kernelILj512Eid21rocsparse_complex_numIdES2_S2_EEvT0_S3_S3_NS_24const_host_device_scalarIT4_EEPKS3_PKT1_PKT2_S6_PT3_21rocsparse_index_base_b,comdat
	.globl	_ZN9rocsparseL13ellmvn_kernelILj512Eid21rocsparse_complex_numIdES2_S2_EEvT0_S3_S3_NS_24const_host_device_scalarIT4_EEPKS3_PKT1_PKT2_S6_PT3_21rocsparse_index_base_b ; -- Begin function _ZN9rocsparseL13ellmvn_kernelILj512Eid21rocsparse_complex_numIdES2_S2_EEvT0_S3_S3_NS_24const_host_device_scalarIT4_EEPKS3_PKT1_PKT2_S6_PT3_21rocsparse_index_base_b
	.p2align	8
	.type	_ZN9rocsparseL13ellmvn_kernelILj512Eid21rocsparse_complex_numIdES2_S2_EEvT0_S3_S3_NS_24const_host_device_scalarIT4_EEPKS3_PKT1_PKT2_S6_PT3_21rocsparse_index_base_b,@function
_ZN9rocsparseL13ellmvn_kernelILj512Eid21rocsparse_complex_numIdES2_S2_EEvT0_S3_S3_NS_24const_host_device_scalarIT4_EEPKS3_PKT1_PKT2_S6_PT3_21rocsparse_index_base_b: ; @_ZN9rocsparseL13ellmvn_kernelILj512Eid21rocsparse_complex_numIdES2_S2_EEvT0_S3_S3_NS_24const_host_device_scalarIT4_EEPKS3_PKT1_PKT2_S6_PT3_21rocsparse_index_base_b
; %bb.0:
	s_clause 0x1
	s_load_b64 s[8:9], s[0:1], 0x50
	s_load_b64 s[2:3], s[0:1], 0x10
	v_mov_b32_e32 v1, 0
	s_add_nc_u64 s[4:5], s[0:1], 16
	s_load_b64 s[6:7], s[0:1], 0x38
	s_wait_kmcnt 0x0
	s_bitcmp1_b32 s9, 0
	s_cselect_b32 s3, s5, s3
	s_cselect_b32 s2, s4, s2
	flat_load_b128 v[2:5], v1, s[2:3]
	s_wait_xcnt 0x0
	s_add_nc_u64 s[2:3], s[0:1], 56
	s_delay_alu instid0(SALU_CYCLE_1)
	s_cselect_b32 s3, s3, s7
	s_cselect_b32 s2, s2, s6
	flat_load_b128 v[6:9], v1, s[2:3]
	s_wait_loadcnt_dscnt 0x101
	v_cmp_eq_f64_e32 vcc_lo, 0, v[2:3]
	s_wait_xcnt 0x0
	v_cmp_eq_f64_e64 s2, 0, v[4:5]
	s_and_b32 s4, vcc_lo, s2
	s_mov_b32 s2, -1
	s_and_saveexec_b32 s3, s4
	s_cbranch_execz .LBB36_2
; %bb.1:
	s_wait_loadcnt_dscnt 0x0
	v_cmp_neq_f64_e32 vcc_lo, 1.0, v[6:7]
	v_cmp_neq_f64_e64 s2, 0, v[8:9]
	s_or_b32 s2, vcc_lo, s2
	s_delay_alu instid0(SALU_CYCLE_1)
	s_or_not1_b32 s2, s2, exec_lo
.LBB36_2:
	s_or_b32 exec_lo, exec_lo, s3
	s_and_saveexec_b32 s3, s2
	s_cbranch_execz .LBB36_15
; %bb.3:
	s_load_b96 s[4:6], s[0:1], 0x0
	s_bfe_u32 s2, ttmp6, 0x4000c
	s_and_b32 s3, ttmp6, 15
	s_add_co_i32 s2, s2, 1
	s_getreg_b32 s7, hwreg(HW_REG_IB_STS2, 6, 4)
	s_mul_i32 s2, ttmp9, s2
	s_delay_alu instid0(SALU_CYCLE_1) | instskip(SKIP_2) | instid1(SALU_CYCLE_1)
	s_add_co_i32 s3, s3, s2
	s_cmp_eq_u32 s7, 0
	s_cselect_b32 s2, ttmp9, s3
	v_lshl_or_b32 v0, s2, 9, v0
	s_wait_kmcnt 0x0
	s_delay_alu instid0(VALU_DEP_1)
	v_cmp_gt_i32_e32 vcc_lo, s4, v0
	s_and_b32 exec_lo, exec_lo, vcc_lo
	s_cbranch_execz .LBB36_15
; %bb.4:
	s_load_b64 s[2:3], s[0:1], 0x48
	s_cmp_lt_i32 s6, 1
	s_cbranch_scc1 .LBB36_10
; %bb.5:
	s_clause 0x1
	s_load_b128 s[12:15], s[0:1], 0x20
	s_load_b64 s[10:11], s[0:1], 0x30
	v_ashrrev_i32_e32 v1, 31, v0
	v_mov_b64_e32 v[10:11], 0
	v_mov_b64_e32 v[12:13], 0
	s_wait_xcnt 0x0
	s_ashr_i32 s1, s4, 31
	s_mov_b32 s0, s4
                                        ; implicit-def: $sgpr4
	s_wait_kmcnt 0x0
	v_lshl_add_u64 v[14:15], v[0:1], 2, s[12:13]
	v_lshl_add_u64 v[16:17], v[0:1], 3, s[14:15]
	s_lshl_b64 s[12:13], s[0:1], 2
	s_lshl_b64 s[14:15], s[0:1], 3
	s_mov_b32 s1, 0
	s_branch .LBB36_7
.LBB36_6:                               ;   in Loop: Header=BB36_7 Depth=1
	s_or_b32 exec_lo, exec_lo, s0
	s_delay_alu instid0(SALU_CYCLE_1) | instskip(NEXT) | instid1(SALU_CYCLE_1)
	s_and_b32 s0, exec_lo, s4
	s_or_b32 s1, s0, s1
	s_delay_alu instid0(SALU_CYCLE_1)
	s_and_not1_b32 exec_lo, exec_lo, s1
	s_cbranch_execz .LBB36_9
.LBB36_7:                               ; =>This Inner Loop Header: Depth=1
	global_load_b32 v1, v[14:15], off th:TH_LOAD_NT
	s_or_b32 s4, s4, exec_lo
	s_wait_loadcnt 0x0
	v_subrev_nc_u32_e32 v1, s8, v1
	s_delay_alu instid0(VALU_DEP_1) | instskip(SKIP_2) | instid1(SALU_CYCLE_1)
	v_cmp_lt_i32_e32 vcc_lo, -1, v1
	v_cmp_gt_i32_e64 s0, s5, v1
	s_and_b32 s7, vcc_lo, s0
	s_and_saveexec_b32 s0, s7
	s_cbranch_execz .LBB36_6
; %bb.8:                                ;   in Loop: Header=BB36_7 Depth=1
	global_load_b64 v[22:23], v[16:17], off th:TH_LOAD_NT
	global_load_b128 v[18:21], v1, s[10:11] scale_offset
	s_add_co_i32 s6, s6, -1
	v_add_nc_u64_e32 v[14:15], s[12:13], v[14:15]
	s_cmp_eq_u32 s6, 0
	s_wait_xcnt 0x1
	v_add_nc_u64_e32 v[16:17], s[14:15], v[16:17]
	s_cselect_b32 s7, -1, 0
	s_and_not1_b32 s4, s4, exec_lo
	s_and_b32 s7, s7, exec_lo
	s_delay_alu instid0(SALU_CYCLE_1) | instskip(SKIP_3) | instid1(VALU_DEP_2)
	s_or_b32 s4, s4, s7
	s_wait_loadcnt 0x0
	v_fmac_f64_e32 v[12:13], v[22:23], v[18:19]
	v_fmac_f64_e32 v[10:11], 0, v[18:19]
	v_fmac_f64_e32 v[12:13], 0x80000000, v[20:21]
	s_delay_alu instid0(VALU_DEP_2)
	v_fmac_f64_e32 v[10:11], v[22:23], v[20:21]
	s_branch .LBB36_6
.LBB36_9:
	s_or_b32 exec_lo, exec_lo, s1
	s_branch .LBB36_11
.LBB36_10:
	v_mov_b64_e32 v[10:11], 0
	v_mov_b64_e32 v[12:13], 0
.LBB36_11:
	s_wait_loadcnt_dscnt 0x0
	v_cmp_eq_f64_e32 vcc_lo, 0, v[6:7]
	s_wait_xcnt 0x0
	v_cmp_eq_f64_e64 s0, 0, v[8:9]
	s_and_b32 s0, vcc_lo, s0
	s_delay_alu instid0(SALU_CYCLE_1) | instskip(NEXT) | instid1(SALU_CYCLE_1)
	s_and_saveexec_b32 s1, s0
	s_xor_b32 s0, exec_lo, s1
	s_cbranch_execz .LBB36_13
; %bb.12:
	v_mul_f64_e64 v[6:7], v[10:11], -v[4:5]
	v_mul_f64_e32 v[8:9], v[2:3], v[10:11]
                                        ; implicit-def: $vgpr10_vgpr11
	s_delay_alu instid0(VALU_DEP_2) | instskip(NEXT) | instid1(VALU_DEP_2)
	v_fmac_f64_e32 v[6:7], v[2:3], v[12:13]
	v_fmac_f64_e32 v[8:9], v[4:5], v[12:13]
                                        ; implicit-def: $vgpr4_vgpr5
                                        ; implicit-def: $vgpr12_vgpr13
	s_wait_kmcnt 0x0
	global_store_b128 v0, v[6:9], s[2:3] scale_offset th:TH_STORE_NT
                                        ; implicit-def: $vgpr0
                                        ; implicit-def: $vgpr6_vgpr7
.LBB36_13:
	s_wait_xcnt 0x0
	s_and_not1_saveexec_b32 s0, s0
	s_cbranch_execz .LBB36_15
; %bb.14:
	s_wait_kmcnt 0x0
	global_load_b128 v[14:17], v0, s[2:3] scale_offset th:TH_LOAD_NT
	v_mul_f64_e64 v[18:19], v[10:11], -v[4:5]
	v_mul_f64_e32 v[10:11], v[2:3], v[10:11]
	s_delay_alu instid0(VALU_DEP_2) | instskip(NEXT) | instid1(VALU_DEP_2)
	v_fmac_f64_e32 v[18:19], v[2:3], v[12:13]
	v_fmac_f64_e32 v[10:11], v[4:5], v[12:13]
	s_wait_loadcnt 0x0
	s_delay_alu instid0(VALU_DEP_2) | instskip(NEXT) | instid1(VALU_DEP_2)
	v_fmac_f64_e32 v[18:19], v[6:7], v[14:15]
	v_fmac_f64_e32 v[10:11], v[8:9], v[14:15]
	s_delay_alu instid0(VALU_DEP_2) | instskip(NEXT) | instid1(VALU_DEP_2)
	v_fma_f64 v[8:9], -v[8:9], v[16:17], v[18:19]
	v_fmac_f64_e32 v[10:11], v[6:7], v[16:17]
	global_store_b128 v0, v[8:11], s[2:3] scale_offset th:TH_STORE_NT
.LBB36_15:
	s_endpgm
	.section	.rodata,"a",@progbits
	.p2align	6, 0x0
	.amdhsa_kernel _ZN9rocsparseL13ellmvn_kernelILj512Eid21rocsparse_complex_numIdES2_S2_EEvT0_S3_S3_NS_24const_host_device_scalarIT4_EEPKS3_PKT1_PKT2_S6_PT3_21rocsparse_index_base_b
		.amdhsa_group_segment_fixed_size 0
		.amdhsa_private_segment_fixed_size 0
		.amdhsa_kernarg_size 88
		.amdhsa_user_sgpr_count 2
		.amdhsa_user_sgpr_dispatch_ptr 0
		.amdhsa_user_sgpr_queue_ptr 0
		.amdhsa_user_sgpr_kernarg_segment_ptr 1
		.amdhsa_user_sgpr_dispatch_id 0
		.amdhsa_user_sgpr_kernarg_preload_length 0
		.amdhsa_user_sgpr_kernarg_preload_offset 0
		.amdhsa_user_sgpr_private_segment_size 0
		.amdhsa_wavefront_size32 1
		.amdhsa_uses_dynamic_stack 0
		.amdhsa_enable_private_segment 0
		.amdhsa_system_sgpr_workgroup_id_x 1
		.amdhsa_system_sgpr_workgroup_id_y 0
		.amdhsa_system_sgpr_workgroup_id_z 0
		.amdhsa_system_sgpr_workgroup_info 0
		.amdhsa_system_vgpr_workitem_id 0
		.amdhsa_next_free_vgpr 24
		.amdhsa_next_free_sgpr 16
		.amdhsa_named_barrier_count 0
		.amdhsa_reserve_vcc 1
		.amdhsa_float_round_mode_32 0
		.amdhsa_float_round_mode_16_64 0
		.amdhsa_float_denorm_mode_32 3
		.amdhsa_float_denorm_mode_16_64 3
		.amdhsa_fp16_overflow 0
		.amdhsa_memory_ordered 1
		.amdhsa_forward_progress 1
		.amdhsa_inst_pref_size 6
		.amdhsa_round_robin_scheduling 0
		.amdhsa_exception_fp_ieee_invalid_op 0
		.amdhsa_exception_fp_denorm_src 0
		.amdhsa_exception_fp_ieee_div_zero 0
		.amdhsa_exception_fp_ieee_overflow 0
		.amdhsa_exception_fp_ieee_underflow 0
		.amdhsa_exception_fp_ieee_inexact 0
		.amdhsa_exception_int_div_zero 0
	.end_amdhsa_kernel
	.section	.text._ZN9rocsparseL13ellmvn_kernelILj512Eid21rocsparse_complex_numIdES2_S2_EEvT0_S3_S3_NS_24const_host_device_scalarIT4_EEPKS3_PKT1_PKT2_S6_PT3_21rocsparse_index_base_b,"axG",@progbits,_ZN9rocsparseL13ellmvn_kernelILj512Eid21rocsparse_complex_numIdES2_S2_EEvT0_S3_S3_NS_24const_host_device_scalarIT4_EEPKS3_PKT1_PKT2_S6_PT3_21rocsparse_index_base_b,comdat
.Lfunc_end36:
	.size	_ZN9rocsparseL13ellmvn_kernelILj512Eid21rocsparse_complex_numIdES2_S2_EEvT0_S3_S3_NS_24const_host_device_scalarIT4_EEPKS3_PKT1_PKT2_S6_PT3_21rocsparse_index_base_b, .Lfunc_end36-_ZN9rocsparseL13ellmvn_kernelILj512Eid21rocsparse_complex_numIdES2_S2_EEvT0_S3_S3_NS_24const_host_device_scalarIT4_EEPKS3_PKT1_PKT2_S6_PT3_21rocsparse_index_base_b
                                        ; -- End function
	.set _ZN9rocsparseL13ellmvn_kernelILj512Eid21rocsparse_complex_numIdES2_S2_EEvT0_S3_S3_NS_24const_host_device_scalarIT4_EEPKS3_PKT1_PKT2_S6_PT3_21rocsparse_index_base_b.num_vgpr, 24
	.set _ZN9rocsparseL13ellmvn_kernelILj512Eid21rocsparse_complex_numIdES2_S2_EEvT0_S3_S3_NS_24const_host_device_scalarIT4_EEPKS3_PKT1_PKT2_S6_PT3_21rocsparse_index_base_b.num_agpr, 0
	.set _ZN9rocsparseL13ellmvn_kernelILj512Eid21rocsparse_complex_numIdES2_S2_EEvT0_S3_S3_NS_24const_host_device_scalarIT4_EEPKS3_PKT1_PKT2_S6_PT3_21rocsparse_index_base_b.numbered_sgpr, 16
	.set _ZN9rocsparseL13ellmvn_kernelILj512Eid21rocsparse_complex_numIdES2_S2_EEvT0_S3_S3_NS_24const_host_device_scalarIT4_EEPKS3_PKT1_PKT2_S6_PT3_21rocsparse_index_base_b.num_named_barrier, 0
	.set _ZN9rocsparseL13ellmvn_kernelILj512Eid21rocsparse_complex_numIdES2_S2_EEvT0_S3_S3_NS_24const_host_device_scalarIT4_EEPKS3_PKT1_PKT2_S6_PT3_21rocsparse_index_base_b.private_seg_size, 0
	.set _ZN9rocsparseL13ellmvn_kernelILj512Eid21rocsparse_complex_numIdES2_S2_EEvT0_S3_S3_NS_24const_host_device_scalarIT4_EEPKS3_PKT1_PKT2_S6_PT3_21rocsparse_index_base_b.uses_vcc, 1
	.set _ZN9rocsparseL13ellmvn_kernelILj512Eid21rocsparse_complex_numIdES2_S2_EEvT0_S3_S3_NS_24const_host_device_scalarIT4_EEPKS3_PKT1_PKT2_S6_PT3_21rocsparse_index_base_b.uses_flat_scratch, 0
	.set _ZN9rocsparseL13ellmvn_kernelILj512Eid21rocsparse_complex_numIdES2_S2_EEvT0_S3_S3_NS_24const_host_device_scalarIT4_EEPKS3_PKT1_PKT2_S6_PT3_21rocsparse_index_base_b.has_dyn_sized_stack, 0
	.set _ZN9rocsparseL13ellmvn_kernelILj512Eid21rocsparse_complex_numIdES2_S2_EEvT0_S3_S3_NS_24const_host_device_scalarIT4_EEPKS3_PKT1_PKT2_S6_PT3_21rocsparse_index_base_b.has_recursion, 0
	.set _ZN9rocsparseL13ellmvn_kernelILj512Eid21rocsparse_complex_numIdES2_S2_EEvT0_S3_S3_NS_24const_host_device_scalarIT4_EEPKS3_PKT1_PKT2_S6_PT3_21rocsparse_index_base_b.has_indirect_call, 0
	.section	.AMDGPU.csdata,"",@progbits
; Kernel info:
; codeLenInByte = 716
; TotalNumSgprs: 18
; NumVgprs: 24
; ScratchSize: 0
; MemoryBound: 0
; FloatMode: 240
; IeeeMode: 1
; LDSByteSize: 0 bytes/workgroup (compile time only)
; SGPRBlocks: 0
; VGPRBlocks: 1
; NumSGPRsForWavesPerEU: 18
; NumVGPRsForWavesPerEU: 24
; NamedBarCnt: 0
; Occupancy: 16
; WaveLimiterHint : 1
; COMPUTE_PGM_RSRC2:SCRATCH_EN: 0
; COMPUTE_PGM_RSRC2:USER_SGPR: 2
; COMPUTE_PGM_RSRC2:TRAP_HANDLER: 0
; COMPUTE_PGM_RSRC2:TGID_X_EN: 1
; COMPUTE_PGM_RSRC2:TGID_Y_EN: 0
; COMPUTE_PGM_RSRC2:TGID_Z_EN: 0
; COMPUTE_PGM_RSRC2:TIDIG_COMP_CNT: 0
	.section	.text._ZN9rocsparseL13ellmvt_kernelILj1024Eid21rocsparse_complex_numIdES2_S2_EEv20rocsparse_operation_T0_S4_S4_NS_24const_host_device_scalarIT4_EEPKS4_PKT1_PKT2_PT3_21rocsparse_index_base_b,"axG",@progbits,_ZN9rocsparseL13ellmvt_kernelILj1024Eid21rocsparse_complex_numIdES2_S2_EEv20rocsparse_operation_T0_S4_S4_NS_24const_host_device_scalarIT4_EEPKS4_PKT1_PKT2_PT3_21rocsparse_index_base_b,comdat
	.globl	_ZN9rocsparseL13ellmvt_kernelILj1024Eid21rocsparse_complex_numIdES2_S2_EEv20rocsparse_operation_T0_S4_S4_NS_24const_host_device_scalarIT4_EEPKS4_PKT1_PKT2_PT3_21rocsparse_index_base_b ; -- Begin function _ZN9rocsparseL13ellmvt_kernelILj1024Eid21rocsparse_complex_numIdES2_S2_EEv20rocsparse_operation_T0_S4_S4_NS_24const_host_device_scalarIT4_EEPKS4_PKT1_PKT2_PT3_21rocsparse_index_base_b
	.p2align	8
	.type	_ZN9rocsparseL13ellmvt_kernelILj1024Eid21rocsparse_complex_numIdES2_S2_EEv20rocsparse_operation_T0_S4_S4_NS_24const_host_device_scalarIT4_EEPKS4_PKT1_PKT2_PT3_21rocsparse_index_base_b,@function
_ZN9rocsparseL13ellmvt_kernelILj1024Eid21rocsparse_complex_numIdES2_S2_EEv20rocsparse_operation_T0_S4_S4_NS_24const_host_device_scalarIT4_EEPKS4_PKT1_PKT2_PT3_21rocsparse_index_base_b: ; @_ZN9rocsparseL13ellmvt_kernelILj1024Eid21rocsparse_complex_numIdES2_S2_EEv20rocsparse_operation_T0_S4_S4_NS_24const_host_device_scalarIT4_EEPKS4_PKT1_PKT2_PT3_21rocsparse_index_base_b
; %bb.0:
	s_clause 0x1
	s_load_b64 s[16:17], s[0:1], 0x40
	s_load_b64 s[2:3], s[0:1], 0x10
	v_mov_b32_e32 v1, 0
	s_add_nc_u64 s[4:5], s[0:1], 16
	s_wait_kmcnt 0x0
	s_bitcmp1_b32 s17, 0
	s_cselect_b32 s3, s5, s3
	s_cselect_b32 s2, s4, s2
	flat_load_b128 v[2:5], v1, s[2:3]
	s_wait_loadcnt_dscnt 0x0
	v_cmp_neq_f64_e32 vcc_lo, 0, v[2:3]
	v_cmp_neq_f64_e64 s2, 0, v[4:5]
	s_or_b32 s2, vcc_lo, s2
	s_delay_alu instid0(SALU_CYCLE_1)
	s_and_saveexec_b32 s3, s2
	s_cbranch_execz .LBB37_7
; %bb.1:
	s_load_b96 s[12:14], s[0:1], 0x4
	s_bfe_u32 s2, ttmp6, 0x4000c
	s_and_b32 s3, ttmp6, 15
	s_add_co_i32 s2, s2, 1
	s_getreg_b32 s4, hwreg(HW_REG_IB_STS2, 6, 4)
	s_mul_i32 s2, ttmp9, s2
	s_delay_alu instid0(SALU_CYCLE_1) | instskip(SKIP_2) | instid1(SALU_CYCLE_1)
	s_add_co_i32 s3, s3, s2
	s_cmp_eq_u32 s4, 0
	s_cselect_b32 s2, ttmp9, s3
	v_lshl_or_b32 v10, s2, 10, v0
	s_wait_kmcnt 0x0
	s_delay_alu instid0(VALU_DEP_1)
	v_cmp_gt_i32_e32 vcc_lo, s12, v10
	s_and_b32 exec_lo, exec_lo, vcc_lo
	s_cbranch_execz .LBB37_7
; %bb.2:
	s_cmp_lt_i32 s14, 1
	s_cbranch_scc1 .LBB37_7
; %bb.3:
	s_load_b256 s[4:11], s[0:1], 0x20
	s_wait_xcnt 0x0
	s_ashr_i32 s1, s12, 31
	s_mov_b32 s0, s12
	v_ashrrev_i32_e32 v11, 31, v10
	s_lshl_b64 s[2:3], s[0:1], 2
	s_wait_kmcnt 0x0
	global_load_b128 v[12:15], v10, s[8:9] scale_offset
	v_lshl_add_u64 v[8:9], v[10:11], 2, s[4:5]
	s_wait_xcnt 0x0
	v_lshl_add_u64 v[10:11], v[10:11], 3, s[6:7]
	s_lshl_b64 s[4:5], s[0:1], 3
	s_mov_b32 s1, 0
                                        ; implicit-def: $sgpr6
	s_wait_loadcnt 0x0
	v_mul_f64_e32 v[0:1], v[2:3], v[14:15]
	v_mul_f64_e64 v[6:7], v[14:15], -v[4:5]
	s_delay_alu instid0(VALU_DEP_2) | instskip(NEXT) | instid1(VALU_DEP_2)
	v_fmac_f64_e32 v[0:1], v[4:5], v[12:13]
	v_fmac_f64_e32 v[6:7], v[2:3], v[12:13]
	v_mov_b32_e32 v13, 0
	s_delay_alu instid0(VALU_DEP_3) | instskip(NEXT) | instid1(VALU_DEP_3)
	v_mul_f64_e32 v[2:3], 0x80000000, v[0:1]
	v_mul_f64_e32 v[4:5], 0, v[6:7]
	s_branch .LBB37_5
.LBB37_4:                               ;   in Loop: Header=BB37_5 Depth=1
	s_wait_xcnt 0x0
	s_or_b32 exec_lo, exec_lo, s0
	s_delay_alu instid0(SALU_CYCLE_1) | instskip(NEXT) | instid1(SALU_CYCLE_1)
	s_and_b32 s0, exec_lo, s6
	s_or_b32 s1, s0, s1
	s_delay_alu instid0(SALU_CYCLE_1)
	s_and_not1_b32 exec_lo, exec_lo, s1
	s_cbranch_execz .LBB37_7
.LBB37_5:                               ; =>This Inner Loop Header: Depth=1
	global_load_b32 v12, v[8:9], off th:TH_LOAD_NT
	s_or_b32 s6, s6, exec_lo
	s_wait_loadcnt 0x0
	v_subrev_nc_u32_e32 v12, s16, v12
	s_delay_alu instid0(VALU_DEP_1)
	v_cmp_lt_i32_e32 vcc_lo, -1, v12
	v_cmp_gt_i32_e64 s0, s13, v12
	s_and_b32 s7, vcc_lo, s0
	s_wait_xcnt 0x0
	s_and_saveexec_b32 s0, s7
	s_cbranch_execz .LBB37_4
; %bb.6:                                ;   in Loop: Header=BB37_5 Depth=1
	global_load_b64 v[14:15], v[10:11], off th:TH_LOAD_NT
	v_lshl_add_u64 v[18:19], v[12:13], 4, s[10:11]
	s_add_co_i32 s14, s14, -1
	v_add_nc_u64_e32 v[8:9], s[2:3], v[8:9]
	s_cmp_eq_u32 s14, 0
	s_wait_xcnt 0x0
	v_add_nc_u64_e32 v[10:11], s[4:5], v[10:11]
	s_cselect_b32 s7, -1, 0
	s_and_not1_b32 s6, s6, exec_lo
	s_and_b32 s7, s7, exec_lo
	s_delay_alu instid0(SALU_CYCLE_1)
	s_or_b32 s6, s6, s7
	s_wait_loadcnt 0x0
	v_fma_f64 v[16:17], v[6:7], v[14:15], v[2:3]
	v_fma_f64 v[14:15], v[0:1], v[14:15], v[4:5]
	global_atomic_add_f64 v[18:19], v[16:17], off scope:SCOPE_DEV
	s_wait_xcnt 0x0
	global_atomic_add_f64 v[18:19], v[14:15], off offset:8 scope:SCOPE_DEV
	s_branch .LBB37_4
.LBB37_7:
	s_endpgm
	.section	.rodata,"a",@progbits
	.p2align	6, 0x0
	.amdhsa_kernel _ZN9rocsparseL13ellmvt_kernelILj1024Eid21rocsparse_complex_numIdES2_S2_EEv20rocsparse_operation_T0_S4_S4_NS_24const_host_device_scalarIT4_EEPKS4_PKT1_PKT2_PT3_21rocsparse_index_base_b
		.amdhsa_group_segment_fixed_size 0
		.amdhsa_private_segment_fixed_size 0
		.amdhsa_kernarg_size 72
		.amdhsa_user_sgpr_count 2
		.amdhsa_user_sgpr_dispatch_ptr 0
		.amdhsa_user_sgpr_queue_ptr 0
		.amdhsa_user_sgpr_kernarg_segment_ptr 1
		.amdhsa_user_sgpr_dispatch_id 0
		.amdhsa_user_sgpr_kernarg_preload_length 0
		.amdhsa_user_sgpr_kernarg_preload_offset 0
		.amdhsa_user_sgpr_private_segment_size 0
		.amdhsa_wavefront_size32 1
		.amdhsa_uses_dynamic_stack 0
		.amdhsa_enable_private_segment 0
		.amdhsa_system_sgpr_workgroup_id_x 1
		.amdhsa_system_sgpr_workgroup_id_y 0
		.amdhsa_system_sgpr_workgroup_id_z 0
		.amdhsa_system_sgpr_workgroup_info 0
		.amdhsa_system_vgpr_workitem_id 0
		.amdhsa_next_free_vgpr 20
		.amdhsa_next_free_sgpr 18
		.amdhsa_named_barrier_count 0
		.amdhsa_reserve_vcc 1
		.amdhsa_float_round_mode_32 0
		.amdhsa_float_round_mode_16_64 0
		.amdhsa_float_denorm_mode_32 3
		.amdhsa_float_denorm_mode_16_64 3
		.amdhsa_fp16_overflow 0
		.amdhsa_memory_ordered 1
		.amdhsa_forward_progress 1
		.amdhsa_inst_pref_size 4
		.amdhsa_round_robin_scheduling 0
		.amdhsa_exception_fp_ieee_invalid_op 0
		.amdhsa_exception_fp_denorm_src 0
		.amdhsa_exception_fp_ieee_div_zero 0
		.amdhsa_exception_fp_ieee_overflow 0
		.amdhsa_exception_fp_ieee_underflow 0
		.amdhsa_exception_fp_ieee_inexact 0
		.amdhsa_exception_int_div_zero 0
	.end_amdhsa_kernel
	.section	.text._ZN9rocsparseL13ellmvt_kernelILj1024Eid21rocsparse_complex_numIdES2_S2_EEv20rocsparse_operation_T0_S4_S4_NS_24const_host_device_scalarIT4_EEPKS4_PKT1_PKT2_PT3_21rocsparse_index_base_b,"axG",@progbits,_ZN9rocsparseL13ellmvt_kernelILj1024Eid21rocsparse_complex_numIdES2_S2_EEv20rocsparse_operation_T0_S4_S4_NS_24const_host_device_scalarIT4_EEPKS4_PKT1_PKT2_PT3_21rocsparse_index_base_b,comdat
.Lfunc_end37:
	.size	_ZN9rocsparseL13ellmvt_kernelILj1024Eid21rocsparse_complex_numIdES2_S2_EEv20rocsparse_operation_T0_S4_S4_NS_24const_host_device_scalarIT4_EEPKS4_PKT1_PKT2_PT3_21rocsparse_index_base_b, .Lfunc_end37-_ZN9rocsparseL13ellmvt_kernelILj1024Eid21rocsparse_complex_numIdES2_S2_EEv20rocsparse_operation_T0_S4_S4_NS_24const_host_device_scalarIT4_EEPKS4_PKT1_PKT2_PT3_21rocsparse_index_base_b
                                        ; -- End function
	.set _ZN9rocsparseL13ellmvt_kernelILj1024Eid21rocsparse_complex_numIdES2_S2_EEv20rocsparse_operation_T0_S4_S4_NS_24const_host_device_scalarIT4_EEPKS4_PKT1_PKT2_PT3_21rocsparse_index_base_b.num_vgpr, 20
	.set _ZN9rocsparseL13ellmvt_kernelILj1024Eid21rocsparse_complex_numIdES2_S2_EEv20rocsparse_operation_T0_S4_S4_NS_24const_host_device_scalarIT4_EEPKS4_PKT1_PKT2_PT3_21rocsparse_index_base_b.num_agpr, 0
	.set _ZN9rocsparseL13ellmvt_kernelILj1024Eid21rocsparse_complex_numIdES2_S2_EEv20rocsparse_operation_T0_S4_S4_NS_24const_host_device_scalarIT4_EEPKS4_PKT1_PKT2_PT3_21rocsparse_index_base_b.numbered_sgpr, 18
	.set _ZN9rocsparseL13ellmvt_kernelILj1024Eid21rocsparse_complex_numIdES2_S2_EEv20rocsparse_operation_T0_S4_S4_NS_24const_host_device_scalarIT4_EEPKS4_PKT1_PKT2_PT3_21rocsparse_index_base_b.num_named_barrier, 0
	.set _ZN9rocsparseL13ellmvt_kernelILj1024Eid21rocsparse_complex_numIdES2_S2_EEv20rocsparse_operation_T0_S4_S4_NS_24const_host_device_scalarIT4_EEPKS4_PKT1_PKT2_PT3_21rocsparse_index_base_b.private_seg_size, 0
	.set _ZN9rocsparseL13ellmvt_kernelILj1024Eid21rocsparse_complex_numIdES2_S2_EEv20rocsparse_operation_T0_S4_S4_NS_24const_host_device_scalarIT4_EEPKS4_PKT1_PKT2_PT3_21rocsparse_index_base_b.uses_vcc, 1
	.set _ZN9rocsparseL13ellmvt_kernelILj1024Eid21rocsparse_complex_numIdES2_S2_EEv20rocsparse_operation_T0_S4_S4_NS_24const_host_device_scalarIT4_EEPKS4_PKT1_PKT2_PT3_21rocsparse_index_base_b.uses_flat_scratch, 0
	.set _ZN9rocsparseL13ellmvt_kernelILj1024Eid21rocsparse_complex_numIdES2_S2_EEv20rocsparse_operation_T0_S4_S4_NS_24const_host_device_scalarIT4_EEPKS4_PKT1_PKT2_PT3_21rocsparse_index_base_b.has_dyn_sized_stack, 0
	.set _ZN9rocsparseL13ellmvt_kernelILj1024Eid21rocsparse_complex_numIdES2_S2_EEv20rocsparse_operation_T0_S4_S4_NS_24const_host_device_scalarIT4_EEPKS4_PKT1_PKT2_PT3_21rocsparse_index_base_b.has_recursion, 0
	.set _ZN9rocsparseL13ellmvt_kernelILj1024Eid21rocsparse_complex_numIdES2_S2_EEv20rocsparse_operation_T0_S4_S4_NS_24const_host_device_scalarIT4_EEPKS4_PKT1_PKT2_PT3_21rocsparse_index_base_b.has_indirect_call, 0
	.section	.AMDGPU.csdata,"",@progbits
; Kernel info:
; codeLenInByte = 500
; TotalNumSgprs: 20
; NumVgprs: 20
; ScratchSize: 0
; MemoryBound: 0
; FloatMode: 240
; IeeeMode: 1
; LDSByteSize: 0 bytes/workgroup (compile time only)
; SGPRBlocks: 0
; VGPRBlocks: 1
; NumSGPRsForWavesPerEU: 20
; NumVGPRsForWavesPerEU: 20
; NamedBarCnt: 0
; Occupancy: 16
; WaveLimiterHint : 1
; COMPUTE_PGM_RSRC2:SCRATCH_EN: 0
; COMPUTE_PGM_RSRC2:USER_SGPR: 2
; COMPUTE_PGM_RSRC2:TRAP_HANDLER: 0
; COMPUTE_PGM_RSRC2:TGID_X_EN: 1
; COMPUTE_PGM_RSRC2:TGID_Y_EN: 0
; COMPUTE_PGM_RSRC2:TGID_Z_EN: 0
; COMPUTE_PGM_RSRC2:TIDIG_COMP_CNT: 0
	.section	.text._ZN9rocsparseL13ellmvn_kernelILj512Eld21rocsparse_complex_numIdES2_S2_EEvT0_S3_S3_NS_24const_host_device_scalarIT4_EEPKS3_PKT1_PKT2_S6_PT3_21rocsparse_index_base_b,"axG",@progbits,_ZN9rocsparseL13ellmvn_kernelILj512Eld21rocsparse_complex_numIdES2_S2_EEvT0_S3_S3_NS_24const_host_device_scalarIT4_EEPKS3_PKT1_PKT2_S6_PT3_21rocsparse_index_base_b,comdat
	.globl	_ZN9rocsparseL13ellmvn_kernelILj512Eld21rocsparse_complex_numIdES2_S2_EEvT0_S3_S3_NS_24const_host_device_scalarIT4_EEPKS3_PKT1_PKT2_S6_PT3_21rocsparse_index_base_b ; -- Begin function _ZN9rocsparseL13ellmvn_kernelILj512Eld21rocsparse_complex_numIdES2_S2_EEvT0_S3_S3_NS_24const_host_device_scalarIT4_EEPKS3_PKT1_PKT2_S6_PT3_21rocsparse_index_base_b
	.p2align	8
	.type	_ZN9rocsparseL13ellmvn_kernelILj512Eld21rocsparse_complex_numIdES2_S2_EEvT0_S3_S3_NS_24const_host_device_scalarIT4_EEPKS3_PKT1_PKT2_S6_PT3_21rocsparse_index_base_b,@function
_ZN9rocsparseL13ellmvn_kernelILj512Eld21rocsparse_complex_numIdES2_S2_EEvT0_S3_S3_NS_24const_host_device_scalarIT4_EEPKS3_PKT1_PKT2_S6_PT3_21rocsparse_index_base_b: ; @_ZN9rocsparseL13ellmvn_kernelILj512Eld21rocsparse_complex_numIdES2_S2_EEvT0_S3_S3_NS_24const_host_device_scalarIT4_EEPKS3_PKT1_PKT2_S6_PT3_21rocsparse_index_base_b
; %bb.0:
	s_clause 0x1
	s_load_b64 s[16:17], s[0:1], 0x58
	s_load_b256 s[4:11], s[0:1], 0x0
	v_mov_b32_e32 v1, 0
	s_add_nc_u64 s[2:3], s[0:1], 24
	s_load_b64 s[12:13], s[0:1], 0x40
	s_wait_kmcnt 0x0
	s_bitcmp1_b32 s17, 0
	s_cselect_b32 s3, s3, s11
	s_cselect_b32 s2, s2, s10
	flat_load_b128 v[2:5], v1, s[2:3]
	s_wait_xcnt 0x0
	s_add_nc_u64 s[2:3], s[0:1], 64
	s_delay_alu instid0(SALU_CYCLE_1)
	s_cselect_b32 s3, s3, s13
	s_cselect_b32 s2, s2, s12
	flat_load_b128 v[6:9], v1, s[2:3]
	s_wait_loadcnt_dscnt 0x101
	v_cmp_eq_f64_e32 vcc_lo, 0, v[2:3]
	s_wait_xcnt 0x0
	v_cmp_eq_f64_e64 s2, 0, v[4:5]
	s_and_b32 s10, vcc_lo, s2
	s_mov_b32 s2, -1
	s_and_saveexec_b32 s3, s10
	s_cbranch_execz .LBB38_2
; %bb.1:
	s_wait_loadcnt_dscnt 0x0
	v_cmp_neq_f64_e32 vcc_lo, 1.0, v[6:7]
	v_cmp_neq_f64_e64 s2, 0, v[8:9]
	s_or_b32 s2, vcc_lo, s2
	s_delay_alu instid0(SALU_CYCLE_1)
	s_or_not1_b32 s2, s2, exec_lo
.LBB38_2:
	s_or_b32 exec_lo, exec_lo, s3
	s_and_saveexec_b32 s3, s2
	s_cbranch_execz .LBB38_15
; %bb.3:
	s_bfe_u32 s2, ttmp6, 0x4000c
	s_and_b32 s3, ttmp6, 15
	s_add_co_i32 s2, s2, 1
	s_getreg_b32 s10, hwreg(HW_REG_IB_STS2, 6, 4)
	s_mul_i32 s2, ttmp9, s2
	v_mov_b32_e32 v1, 0
	s_add_co_i32 s3, s3, s2
	s_cmp_eq_u32 s10, 0
	s_cselect_b32 s2, ttmp9, s3
	s_delay_alu instid0(SALU_CYCLE_1) | instskip(NEXT) | instid1(VALU_DEP_1)
	v_lshl_or_b32 v0, s2, 9, v0
	v_cmp_gt_i64_e32 vcc_lo, s[4:5], v[0:1]
	s_and_b32 exec_lo, exec_lo, vcc_lo
	s_cbranch_execz .LBB38_15
; %bb.4:
	v_cmp_lt_i64_e64 s2, s[8:9], 1
	s_and_b32 vcc_lo, exec_lo, s2
	s_cbranch_vccnz .LBB38_10
; %bb.5:
	s_clause 0x1
	s_load_b128 s[12:15], s[0:1], 0x28
	s_load_b64 s[10:11], s[0:1], 0x38
	v_lshlrev_b64_e32 v[14:15], 3, v[0:1]
	v_mov_b64_e32 v[10:11], 0
	v_mov_b64_e32 v[12:13], 0
	s_mov_b32 s17, 0
	s_lshl_b64 s[4:5], s[4:5], 3
	s_mov_b32 s3, s17
                                        ; implicit-def: $sgpr18
	s_branch .LBB38_7
.LBB38_6:                               ;   in Loop: Header=BB38_7 Depth=1
	s_or_b32 exec_lo, exec_lo, s2
	s_delay_alu instid0(SALU_CYCLE_1) | instskip(NEXT) | instid1(SALU_CYCLE_1)
	s_and_b32 s2, exec_lo, s18
	s_or_b32 s3, s2, s3
	s_delay_alu instid0(SALU_CYCLE_1)
	s_and_not1_b32 exec_lo, exec_lo, s3
	s_cbranch_execz .LBB38_9
.LBB38_7:                               ; =>This Inner Loop Header: Depth=1
	s_wait_kmcnt 0x0
	v_add_nc_u64_e32 v[16:17], s[12:13], v[14:15]
	s_or_b32 s18, s18, exec_lo
	global_load_b64 v[16:17], v[16:17], off th:TH_LOAD_NT
	s_wait_loadcnt 0x0
	v_sub_nc_u64_e64 v[16:17], v[16:17], s[16:17]
	s_delay_alu instid0(VALU_DEP_1) | instskip(SKIP_2) | instid1(SALU_CYCLE_1)
	v_cmp_lt_i64_e32 vcc_lo, -1, v[16:17]
	v_cmp_gt_i64_e64 s2, s[6:7], v[16:17]
	s_and_b32 s19, vcc_lo, s2
	s_and_saveexec_b32 s2, s19
	s_cbranch_execz .LBB38_6
; %bb.8:                                ;   in Loop: Header=BB38_7 Depth=1
	v_add_nc_u64_e32 v[20:21], s[14:15], v[14:15]
	v_lshl_add_u64 v[22:23], v[16:17], 4, s[10:11]
	s_add_nc_u64 s[8:9], s[8:9], -1
	v_add_nc_u64_e32 v[14:15], s[4:5], v[14:15]
	s_cmp_eq_u64 s[8:9], 0
	global_load_b128 v[16:19], v[22:23], off
	global_load_b64 v[24:25], v[20:21], off th:TH_LOAD_NT
	s_cselect_b32 s19, -1, 0
	s_and_not1_b32 s18, s18, exec_lo
	s_and_b32 s19, s19, exec_lo
	s_delay_alu instid0(SALU_CYCLE_1) | instskip(SKIP_4) | instid1(VALU_DEP_2)
	s_or_b32 s18, s18, s19
	s_wait_loadcnt 0x1
	v_fmac_f64_e32 v[10:11], 0, v[16:17]
	s_wait_loadcnt 0x0
	v_fmac_f64_e32 v[12:13], v[24:25], v[16:17]
	v_fmac_f64_e32 v[10:11], v[24:25], v[18:19]
	s_delay_alu instid0(VALU_DEP_2)
	v_fmac_f64_e32 v[12:13], 0x80000000, v[18:19]
	s_branch .LBB38_6
.LBB38_9:
	s_or_b32 exec_lo, exec_lo, s3
	s_branch .LBB38_11
.LBB38_10:
	v_mov_b64_e32 v[10:11], 0
	v_mov_b64_e32 v[12:13], 0
.LBB38_11:
	s_load_b64 s[2:3], s[0:1], 0x50
	s_wait_loadcnt_dscnt 0x0
	v_cmp_eq_f64_e32 vcc_lo, 0, v[6:7]
	s_wait_xcnt 0x0
	v_cmp_eq_f64_e64 s0, 0, v[8:9]
	s_and_b32 s0, vcc_lo, s0
	s_delay_alu instid0(SALU_CYCLE_1) | instskip(NEXT) | instid1(SALU_CYCLE_1)
	s_and_saveexec_b32 s1, s0
	s_xor_b32 s0, exec_lo, s1
	s_cbranch_execz .LBB38_13
; %bb.12:
	v_mul_f64_e64 v[6:7], v[10:11], -v[4:5]
	v_mul_f64_e32 v[8:9], v[2:3], v[10:11]
	s_wait_kmcnt 0x0
	v_lshl_add_u64 v[0:1], v[0:1], 4, s[2:3]
                                        ; implicit-def: $vgpr10_vgpr11
	s_delay_alu instid0(VALU_DEP_3) | instskip(NEXT) | instid1(VALU_DEP_3)
	v_fmac_f64_e32 v[6:7], v[2:3], v[12:13]
	v_fmac_f64_e32 v[8:9], v[4:5], v[12:13]
                                        ; implicit-def: $vgpr4_vgpr5
                                        ; implicit-def: $vgpr12_vgpr13
	global_store_b128 v[0:1], v[6:9], off th:TH_STORE_NT
                                        ; implicit-def: $vgpr0_vgpr1
                                        ; implicit-def: $vgpr6_vgpr7
.LBB38_13:
	s_wait_xcnt 0x0
	s_and_not1_saveexec_b32 s0, s0
	s_cbranch_execz .LBB38_15
; %bb.14:
	s_wait_kmcnt 0x0
	v_lshl_add_u64 v[0:1], v[0:1], 4, s[2:3]
	v_mul_f64_e64 v[18:19], v[10:11], -v[4:5]
	v_mul_f64_e32 v[10:11], v[2:3], v[10:11]
	global_load_b128 v[14:17], v[0:1], off th:TH_LOAD_NT
	v_fmac_f64_e32 v[18:19], v[2:3], v[12:13]
	v_fmac_f64_e32 v[10:11], v[4:5], v[12:13]
	s_wait_loadcnt 0x0
	s_delay_alu instid0(VALU_DEP_2) | instskip(NEXT) | instid1(VALU_DEP_2)
	v_fmac_f64_e32 v[18:19], v[6:7], v[14:15]
	v_fmac_f64_e32 v[10:11], v[8:9], v[14:15]
	s_delay_alu instid0(VALU_DEP_2) | instskip(NEXT) | instid1(VALU_DEP_2)
	v_fma_f64 v[8:9], -v[8:9], v[16:17], v[18:19]
	v_fmac_f64_e32 v[10:11], v[6:7], v[16:17]
	global_store_b128 v[0:1], v[8:11], off th:TH_STORE_NT
.LBB38_15:
	s_endpgm
	.section	.rodata,"a",@progbits
	.p2align	6, 0x0
	.amdhsa_kernel _ZN9rocsparseL13ellmvn_kernelILj512Eld21rocsparse_complex_numIdES2_S2_EEvT0_S3_S3_NS_24const_host_device_scalarIT4_EEPKS3_PKT1_PKT2_S6_PT3_21rocsparse_index_base_b
		.amdhsa_group_segment_fixed_size 0
		.amdhsa_private_segment_fixed_size 0
		.amdhsa_kernarg_size 96
		.amdhsa_user_sgpr_count 2
		.amdhsa_user_sgpr_dispatch_ptr 0
		.amdhsa_user_sgpr_queue_ptr 0
		.amdhsa_user_sgpr_kernarg_segment_ptr 1
		.amdhsa_user_sgpr_dispatch_id 0
		.amdhsa_user_sgpr_kernarg_preload_length 0
		.amdhsa_user_sgpr_kernarg_preload_offset 0
		.amdhsa_user_sgpr_private_segment_size 0
		.amdhsa_wavefront_size32 1
		.amdhsa_uses_dynamic_stack 0
		.amdhsa_enable_private_segment 0
		.amdhsa_system_sgpr_workgroup_id_x 1
		.amdhsa_system_sgpr_workgroup_id_y 0
		.amdhsa_system_sgpr_workgroup_id_z 0
		.amdhsa_system_sgpr_workgroup_info 0
		.amdhsa_system_vgpr_workitem_id 0
		.amdhsa_next_free_vgpr 26
		.amdhsa_next_free_sgpr 20
		.amdhsa_named_barrier_count 0
		.amdhsa_reserve_vcc 1
		.amdhsa_float_round_mode_32 0
		.amdhsa_float_round_mode_16_64 0
		.amdhsa_float_denorm_mode_32 3
		.amdhsa_float_denorm_mode_16_64 3
		.amdhsa_fp16_overflow 0
		.amdhsa_memory_ordered 1
		.amdhsa_forward_progress 1
		.amdhsa_inst_pref_size 6
		.amdhsa_round_robin_scheduling 0
		.amdhsa_exception_fp_ieee_invalid_op 0
		.amdhsa_exception_fp_denorm_src 0
		.amdhsa_exception_fp_ieee_div_zero 0
		.amdhsa_exception_fp_ieee_overflow 0
		.amdhsa_exception_fp_ieee_underflow 0
		.amdhsa_exception_fp_ieee_inexact 0
		.amdhsa_exception_int_div_zero 0
	.end_amdhsa_kernel
	.section	.text._ZN9rocsparseL13ellmvn_kernelILj512Eld21rocsparse_complex_numIdES2_S2_EEvT0_S3_S3_NS_24const_host_device_scalarIT4_EEPKS3_PKT1_PKT2_S6_PT3_21rocsparse_index_base_b,"axG",@progbits,_ZN9rocsparseL13ellmvn_kernelILj512Eld21rocsparse_complex_numIdES2_S2_EEvT0_S3_S3_NS_24const_host_device_scalarIT4_EEPKS3_PKT1_PKT2_S6_PT3_21rocsparse_index_base_b,comdat
.Lfunc_end38:
	.size	_ZN9rocsparseL13ellmvn_kernelILj512Eld21rocsparse_complex_numIdES2_S2_EEvT0_S3_S3_NS_24const_host_device_scalarIT4_EEPKS3_PKT1_PKT2_S6_PT3_21rocsparse_index_base_b, .Lfunc_end38-_ZN9rocsparseL13ellmvn_kernelILj512Eld21rocsparse_complex_numIdES2_S2_EEvT0_S3_S3_NS_24const_host_device_scalarIT4_EEPKS3_PKT1_PKT2_S6_PT3_21rocsparse_index_base_b
                                        ; -- End function
	.set _ZN9rocsparseL13ellmvn_kernelILj512Eld21rocsparse_complex_numIdES2_S2_EEvT0_S3_S3_NS_24const_host_device_scalarIT4_EEPKS3_PKT1_PKT2_S6_PT3_21rocsparse_index_base_b.num_vgpr, 26
	.set _ZN9rocsparseL13ellmvn_kernelILj512Eld21rocsparse_complex_numIdES2_S2_EEvT0_S3_S3_NS_24const_host_device_scalarIT4_EEPKS3_PKT1_PKT2_S6_PT3_21rocsparse_index_base_b.num_agpr, 0
	.set _ZN9rocsparseL13ellmvn_kernelILj512Eld21rocsparse_complex_numIdES2_S2_EEvT0_S3_S3_NS_24const_host_device_scalarIT4_EEPKS3_PKT1_PKT2_S6_PT3_21rocsparse_index_base_b.numbered_sgpr, 20
	.set _ZN9rocsparseL13ellmvn_kernelILj512Eld21rocsparse_complex_numIdES2_S2_EEvT0_S3_S3_NS_24const_host_device_scalarIT4_EEPKS3_PKT1_PKT2_S6_PT3_21rocsparse_index_base_b.num_named_barrier, 0
	.set _ZN9rocsparseL13ellmvn_kernelILj512Eld21rocsparse_complex_numIdES2_S2_EEvT0_S3_S3_NS_24const_host_device_scalarIT4_EEPKS3_PKT1_PKT2_S6_PT3_21rocsparse_index_base_b.private_seg_size, 0
	.set _ZN9rocsparseL13ellmvn_kernelILj512Eld21rocsparse_complex_numIdES2_S2_EEvT0_S3_S3_NS_24const_host_device_scalarIT4_EEPKS3_PKT1_PKT2_S6_PT3_21rocsparse_index_base_b.uses_vcc, 1
	.set _ZN9rocsparseL13ellmvn_kernelILj512Eld21rocsparse_complex_numIdES2_S2_EEvT0_S3_S3_NS_24const_host_device_scalarIT4_EEPKS3_PKT1_PKT2_S6_PT3_21rocsparse_index_base_b.uses_flat_scratch, 0
	.set _ZN9rocsparseL13ellmvn_kernelILj512Eld21rocsparse_complex_numIdES2_S2_EEvT0_S3_S3_NS_24const_host_device_scalarIT4_EEPKS3_PKT1_PKT2_S6_PT3_21rocsparse_index_base_b.has_dyn_sized_stack, 0
	.set _ZN9rocsparseL13ellmvn_kernelILj512Eld21rocsparse_complex_numIdES2_S2_EEvT0_S3_S3_NS_24const_host_device_scalarIT4_EEPKS3_PKT1_PKT2_S6_PT3_21rocsparse_index_base_b.has_recursion, 0
	.set _ZN9rocsparseL13ellmvn_kernelILj512Eld21rocsparse_complex_numIdES2_S2_EEvT0_S3_S3_NS_24const_host_device_scalarIT4_EEPKS3_PKT1_PKT2_S6_PT3_21rocsparse_index_base_b.has_indirect_call, 0
	.section	.AMDGPU.csdata,"",@progbits
; Kernel info:
; codeLenInByte = 712
; TotalNumSgprs: 22
; NumVgprs: 26
; ScratchSize: 0
; MemoryBound: 0
; FloatMode: 240
; IeeeMode: 1
; LDSByteSize: 0 bytes/workgroup (compile time only)
; SGPRBlocks: 0
; VGPRBlocks: 1
; NumSGPRsForWavesPerEU: 22
; NumVGPRsForWavesPerEU: 26
; NamedBarCnt: 0
; Occupancy: 16
; WaveLimiterHint : 1
; COMPUTE_PGM_RSRC2:SCRATCH_EN: 0
; COMPUTE_PGM_RSRC2:USER_SGPR: 2
; COMPUTE_PGM_RSRC2:TRAP_HANDLER: 0
; COMPUTE_PGM_RSRC2:TGID_X_EN: 1
; COMPUTE_PGM_RSRC2:TGID_Y_EN: 0
; COMPUTE_PGM_RSRC2:TGID_Z_EN: 0
; COMPUTE_PGM_RSRC2:TIDIG_COMP_CNT: 0
	.section	.text._ZN9rocsparseL13ellmvt_kernelILj1024Eld21rocsparse_complex_numIdES2_S2_EEv20rocsparse_operation_T0_S4_S4_NS_24const_host_device_scalarIT4_EEPKS4_PKT1_PKT2_PT3_21rocsparse_index_base_b,"axG",@progbits,_ZN9rocsparseL13ellmvt_kernelILj1024Eld21rocsparse_complex_numIdES2_S2_EEv20rocsparse_operation_T0_S4_S4_NS_24const_host_device_scalarIT4_EEPKS4_PKT1_PKT2_PT3_21rocsparse_index_base_b,comdat
	.globl	_ZN9rocsparseL13ellmvt_kernelILj1024Eld21rocsparse_complex_numIdES2_S2_EEv20rocsparse_operation_T0_S4_S4_NS_24const_host_device_scalarIT4_EEPKS4_PKT1_PKT2_PT3_21rocsparse_index_base_b ; -- Begin function _ZN9rocsparseL13ellmvt_kernelILj1024Eld21rocsparse_complex_numIdES2_S2_EEv20rocsparse_operation_T0_S4_S4_NS_24const_host_device_scalarIT4_EEPKS4_PKT1_PKT2_PT3_21rocsparse_index_base_b
	.p2align	8
	.type	_ZN9rocsparseL13ellmvt_kernelILj1024Eld21rocsparse_complex_numIdES2_S2_EEv20rocsparse_operation_T0_S4_S4_NS_24const_host_device_scalarIT4_EEPKS4_PKT1_PKT2_PT3_21rocsparse_index_base_b,@function
_ZN9rocsparseL13ellmvt_kernelILj1024Eld21rocsparse_complex_numIdES2_S2_EEv20rocsparse_operation_T0_S4_S4_NS_24const_host_device_scalarIT4_EEPKS4_PKT1_PKT2_PT3_21rocsparse_index_base_b: ; @_ZN9rocsparseL13ellmvt_kernelILj1024Eld21rocsparse_complex_numIdES2_S2_EEv20rocsparse_operation_T0_S4_S4_NS_24const_host_device_scalarIT4_EEPKS4_PKT1_PKT2_PT3_21rocsparse_index_base_b
; %bb.0:
	s_clause 0x1
	s_load_b64 s[20:21], s[0:1], 0x50
	s_load_b256 s[4:11], s[0:1], 0x8
	v_mov_b32_e32 v1, 0
	s_add_nc_u64 s[2:3], s[0:1], 32
	s_wait_kmcnt 0x0
	s_bitcmp1_b32 s21, 0
	s_cselect_b32 s3, s3, s11
	s_cselect_b32 s2, s2, s10
	flat_load_b128 v[2:5], v1, s[2:3]
	s_wait_loadcnt_dscnt 0x0
	v_cmp_neq_f64_e32 vcc_lo, 0, v[2:3]
	v_cmp_neq_f64_e64 s2, 0, v[4:5]
	s_or_b32 s2, vcc_lo, s2
	s_delay_alu instid0(SALU_CYCLE_1)
	s_and_saveexec_b32 s3, s2
	s_cbranch_execz .LBB39_7
; %bb.1:
	s_bfe_u32 s2, ttmp6, 0x4000c
	s_and_b32 s3, ttmp6, 15
	s_add_co_i32 s2, s2, 1
	s_getreg_b32 s10, hwreg(HW_REG_IB_STS2, 6, 4)
	s_mul_i32 s2, ttmp9, s2
	s_delay_alu instid0(SALU_CYCLE_1) | instskip(SKIP_2) | instid1(SALU_CYCLE_1)
	s_add_co_i32 s3, s3, s2
	s_cmp_eq_u32 s10, 0
	s_cselect_b32 s2, ttmp9, s3
	v_lshl_or_b32 v0, s2, 10, v0
	s_delay_alu instid0(VALU_DEP_1)
	v_cmp_gt_i64_e32 vcc_lo, s[4:5], v[0:1]
	s_and_b32 exec_lo, exec_lo, vcc_lo
	s_cbranch_execz .LBB39_7
; %bb.2:
	v_cmp_lt_i64_e64 s2, s[8:9], 1
	s_and_b32 vcc_lo, exec_lo, s2
	s_cbranch_vccnz .LBB39_7
; %bb.3:
	s_load_b256 s[12:19], s[0:1], 0x30
	s_mov_b32 s21, 0
	s_lshl_b64 s[2:3], s[4:5], 3
	s_wait_xcnt 0x0
	s_mov_b32 s1, s21
                                        ; implicit-def: $sgpr4
	s_wait_kmcnt 0x0
	v_lshl_add_u64 v[6:7], v[0:1], 4, s[16:17]
	v_lshlrev_b64_e32 v[0:1], 3, v[0:1]
	global_load_b128 v[10:13], v[6:7], off
	s_wait_loadcnt 0x0
	v_mul_f64_e32 v[6:7], v[2:3], v[12:13]
	v_mul_f64_e64 v[8:9], v[12:13], -v[4:5]
	s_delay_alu instid0(VALU_DEP_2) | instskip(NEXT) | instid1(VALU_DEP_2)
	v_fmac_f64_e32 v[6:7], v[4:5], v[10:11]
	v_fmac_f64_e32 v[8:9], v[2:3], v[10:11]
	s_delay_alu instid0(VALU_DEP_2) | instskip(NEXT) | instid1(VALU_DEP_2)
	v_mul_f64_e32 v[2:3], 0x80000000, v[6:7]
	v_mul_f64_e32 v[4:5], 0, v[8:9]
	s_branch .LBB39_5
.LBB39_4:                               ;   in Loop: Header=BB39_5 Depth=1
	s_wait_xcnt 0x0
	s_or_b32 exec_lo, exec_lo, s0
	s_delay_alu instid0(SALU_CYCLE_1) | instskip(NEXT) | instid1(SALU_CYCLE_1)
	s_and_b32 s0, exec_lo, s4
	s_or_b32 s1, s0, s1
	s_delay_alu instid0(SALU_CYCLE_1)
	s_and_not1_b32 exec_lo, exec_lo, s1
	s_cbranch_execz .LBB39_7
.LBB39_5:                               ; =>This Inner Loop Header: Depth=1
	v_add_nc_u64_e32 v[10:11], s[12:13], v[0:1]
	s_or_b32 s4, s4, exec_lo
	global_load_b64 v[10:11], v[10:11], off th:TH_LOAD_NT
	s_wait_loadcnt 0x0
	s_wait_xcnt 0x0
	v_sub_nc_u64_e64 v[10:11], v[10:11], s[20:21]
	s_delay_alu instid0(VALU_DEP_1) | instskip(SKIP_2) | instid1(SALU_CYCLE_1)
	v_cmp_lt_i64_e32 vcc_lo, -1, v[10:11]
	v_cmp_gt_i64_e64 s0, s[6:7], v[10:11]
	s_and_b32 s5, vcc_lo, s0
	s_and_saveexec_b32 s0, s5
	s_cbranch_execz .LBB39_4
; %bb.6:                                ;   in Loop: Header=BB39_5 Depth=1
	v_add_nc_u64_e32 v[12:13], s[14:15], v[0:1]
	v_lshl_add_u64 v[10:11], v[10:11], 4, s[18:19]
	s_add_nc_u64 s[8:9], s[8:9], -1
	v_add_nc_u64_e32 v[0:1], s[2:3], v[0:1]
	s_cmp_eq_u64 s[8:9], 0
	s_cselect_b32 s5, -1, 0
	global_load_b64 v[12:13], v[12:13], off th:TH_LOAD_NT
	s_and_not1_b32 s4, s4, exec_lo
	s_and_b32 s5, s5, exec_lo
	s_delay_alu instid0(SALU_CYCLE_1)
	s_or_b32 s4, s4, s5
	s_wait_loadcnt 0x0
	v_fma_f64 v[14:15], v[8:9], v[12:13], v[2:3]
	s_wait_xcnt 0x0
	v_fma_f64 v[12:13], v[6:7], v[12:13], v[4:5]
	global_atomic_add_f64 v[10:11], v[14:15], off scope:SCOPE_DEV
	s_wait_xcnt 0x0
	global_atomic_add_f64 v[10:11], v[12:13], off offset:8 scope:SCOPE_DEV
	s_branch .LBB39_4
.LBB39_7:
	s_endpgm
	.section	.rodata,"a",@progbits
	.p2align	6, 0x0
	.amdhsa_kernel _ZN9rocsparseL13ellmvt_kernelILj1024Eld21rocsparse_complex_numIdES2_S2_EEv20rocsparse_operation_T0_S4_S4_NS_24const_host_device_scalarIT4_EEPKS4_PKT1_PKT2_PT3_21rocsparse_index_base_b
		.amdhsa_group_segment_fixed_size 0
		.amdhsa_private_segment_fixed_size 0
		.amdhsa_kernarg_size 88
		.amdhsa_user_sgpr_count 2
		.amdhsa_user_sgpr_dispatch_ptr 0
		.amdhsa_user_sgpr_queue_ptr 0
		.amdhsa_user_sgpr_kernarg_segment_ptr 1
		.amdhsa_user_sgpr_dispatch_id 0
		.amdhsa_user_sgpr_kernarg_preload_length 0
		.amdhsa_user_sgpr_kernarg_preload_offset 0
		.amdhsa_user_sgpr_private_segment_size 0
		.amdhsa_wavefront_size32 1
		.amdhsa_uses_dynamic_stack 0
		.amdhsa_enable_private_segment 0
		.amdhsa_system_sgpr_workgroup_id_x 1
		.amdhsa_system_sgpr_workgroup_id_y 0
		.amdhsa_system_sgpr_workgroup_id_z 0
		.amdhsa_system_sgpr_workgroup_info 0
		.amdhsa_system_vgpr_workitem_id 0
		.amdhsa_next_free_vgpr 16
		.amdhsa_next_free_sgpr 22
		.amdhsa_named_barrier_count 0
		.amdhsa_reserve_vcc 1
		.amdhsa_float_round_mode_32 0
		.amdhsa_float_round_mode_16_64 0
		.amdhsa_float_denorm_mode_32 3
		.amdhsa_float_denorm_mode_16_64 3
		.amdhsa_fp16_overflow 0
		.amdhsa_memory_ordered 1
		.amdhsa_forward_progress 1
		.amdhsa_inst_pref_size 4
		.amdhsa_round_robin_scheduling 0
		.amdhsa_exception_fp_ieee_invalid_op 0
		.amdhsa_exception_fp_denorm_src 0
		.amdhsa_exception_fp_ieee_div_zero 0
		.amdhsa_exception_fp_ieee_overflow 0
		.amdhsa_exception_fp_ieee_underflow 0
		.amdhsa_exception_fp_ieee_inexact 0
		.amdhsa_exception_int_div_zero 0
	.end_amdhsa_kernel
	.section	.text._ZN9rocsparseL13ellmvt_kernelILj1024Eld21rocsparse_complex_numIdES2_S2_EEv20rocsparse_operation_T0_S4_S4_NS_24const_host_device_scalarIT4_EEPKS4_PKT1_PKT2_PT3_21rocsparse_index_base_b,"axG",@progbits,_ZN9rocsparseL13ellmvt_kernelILj1024Eld21rocsparse_complex_numIdES2_S2_EEv20rocsparse_operation_T0_S4_S4_NS_24const_host_device_scalarIT4_EEPKS4_PKT1_PKT2_PT3_21rocsparse_index_base_b,comdat
.Lfunc_end39:
	.size	_ZN9rocsparseL13ellmvt_kernelILj1024Eld21rocsparse_complex_numIdES2_S2_EEv20rocsparse_operation_T0_S4_S4_NS_24const_host_device_scalarIT4_EEPKS4_PKT1_PKT2_PT3_21rocsparse_index_base_b, .Lfunc_end39-_ZN9rocsparseL13ellmvt_kernelILj1024Eld21rocsparse_complex_numIdES2_S2_EEv20rocsparse_operation_T0_S4_S4_NS_24const_host_device_scalarIT4_EEPKS4_PKT1_PKT2_PT3_21rocsparse_index_base_b
                                        ; -- End function
	.set _ZN9rocsparseL13ellmvt_kernelILj1024Eld21rocsparse_complex_numIdES2_S2_EEv20rocsparse_operation_T0_S4_S4_NS_24const_host_device_scalarIT4_EEPKS4_PKT1_PKT2_PT3_21rocsparse_index_base_b.num_vgpr, 16
	.set _ZN9rocsparseL13ellmvt_kernelILj1024Eld21rocsparse_complex_numIdES2_S2_EEv20rocsparse_operation_T0_S4_S4_NS_24const_host_device_scalarIT4_EEPKS4_PKT1_PKT2_PT3_21rocsparse_index_base_b.num_agpr, 0
	.set _ZN9rocsparseL13ellmvt_kernelILj1024Eld21rocsparse_complex_numIdES2_S2_EEv20rocsparse_operation_T0_S4_S4_NS_24const_host_device_scalarIT4_EEPKS4_PKT1_PKT2_PT3_21rocsparse_index_base_b.numbered_sgpr, 22
	.set _ZN9rocsparseL13ellmvt_kernelILj1024Eld21rocsparse_complex_numIdES2_S2_EEv20rocsparse_operation_T0_S4_S4_NS_24const_host_device_scalarIT4_EEPKS4_PKT1_PKT2_PT3_21rocsparse_index_base_b.num_named_barrier, 0
	.set _ZN9rocsparseL13ellmvt_kernelILj1024Eld21rocsparse_complex_numIdES2_S2_EEv20rocsparse_operation_T0_S4_S4_NS_24const_host_device_scalarIT4_EEPKS4_PKT1_PKT2_PT3_21rocsparse_index_base_b.private_seg_size, 0
	.set _ZN9rocsparseL13ellmvt_kernelILj1024Eld21rocsparse_complex_numIdES2_S2_EEv20rocsparse_operation_T0_S4_S4_NS_24const_host_device_scalarIT4_EEPKS4_PKT1_PKT2_PT3_21rocsparse_index_base_b.uses_vcc, 1
	.set _ZN9rocsparseL13ellmvt_kernelILj1024Eld21rocsparse_complex_numIdES2_S2_EEv20rocsparse_operation_T0_S4_S4_NS_24const_host_device_scalarIT4_EEPKS4_PKT1_PKT2_PT3_21rocsparse_index_base_b.uses_flat_scratch, 0
	.set _ZN9rocsparseL13ellmvt_kernelILj1024Eld21rocsparse_complex_numIdES2_S2_EEv20rocsparse_operation_T0_S4_S4_NS_24const_host_device_scalarIT4_EEPKS4_PKT1_PKT2_PT3_21rocsparse_index_base_b.has_dyn_sized_stack, 0
	.set _ZN9rocsparseL13ellmvt_kernelILj1024Eld21rocsparse_complex_numIdES2_S2_EEv20rocsparse_operation_T0_S4_S4_NS_24const_host_device_scalarIT4_EEPKS4_PKT1_PKT2_PT3_21rocsparse_index_base_b.has_recursion, 0
	.set _ZN9rocsparseL13ellmvt_kernelILj1024Eld21rocsparse_complex_numIdES2_S2_EEv20rocsparse_operation_T0_S4_S4_NS_24const_host_device_scalarIT4_EEPKS4_PKT1_PKT2_PT3_21rocsparse_index_base_b.has_indirect_call, 0
	.section	.AMDGPU.csdata,"",@progbits
; Kernel info:
; codeLenInByte = 480
; TotalNumSgprs: 24
; NumVgprs: 16
; ScratchSize: 0
; MemoryBound: 0
; FloatMode: 240
; IeeeMode: 1
; LDSByteSize: 0 bytes/workgroup (compile time only)
; SGPRBlocks: 0
; VGPRBlocks: 0
; NumSGPRsForWavesPerEU: 24
; NumVGPRsForWavesPerEU: 16
; NamedBarCnt: 0
; Occupancy: 16
; WaveLimiterHint : 1
; COMPUTE_PGM_RSRC2:SCRATCH_EN: 0
; COMPUTE_PGM_RSRC2:USER_SGPR: 2
; COMPUTE_PGM_RSRC2:TRAP_HANDLER: 0
; COMPUTE_PGM_RSRC2:TGID_X_EN: 1
; COMPUTE_PGM_RSRC2:TGID_Y_EN: 0
; COMPUTE_PGM_RSRC2:TGID_Z_EN: 0
; COMPUTE_PGM_RSRC2:TIDIG_COMP_CNT: 0
	.section	.text._ZN9rocsparseL13ellmvn_kernelILj512EifdddEEvT0_S1_S1_NS_24const_host_device_scalarIT4_EEPKS1_PKT1_PKT2_S4_PT3_21rocsparse_index_base_b,"axG",@progbits,_ZN9rocsparseL13ellmvn_kernelILj512EifdddEEvT0_S1_S1_NS_24const_host_device_scalarIT4_EEPKS1_PKT1_PKT2_S4_PT3_21rocsparse_index_base_b,comdat
	.globl	_ZN9rocsparseL13ellmvn_kernelILj512EifdddEEvT0_S1_S1_NS_24const_host_device_scalarIT4_EEPKS1_PKT1_PKT2_S4_PT3_21rocsparse_index_base_b ; -- Begin function _ZN9rocsparseL13ellmvn_kernelILj512EifdddEEvT0_S1_S1_NS_24const_host_device_scalarIT4_EEPKS1_PKT1_PKT2_S4_PT3_21rocsparse_index_base_b
	.p2align	8
	.type	_ZN9rocsparseL13ellmvn_kernelILj512EifdddEEvT0_S1_S1_NS_24const_host_device_scalarIT4_EEPKS1_PKT1_PKT2_S4_PT3_21rocsparse_index_base_b,@function
_ZN9rocsparseL13ellmvn_kernelILj512EifdddEEvT0_S1_S1_NS_24const_host_device_scalarIT4_EEPKS1_PKT1_PKT2_S4_PT3_21rocsparse_index_base_b: ; @_ZN9rocsparseL13ellmvn_kernelILj512EifdddEEvT0_S1_S1_NS_24const_host_device_scalarIT4_EEPKS1_PKT1_PKT2_S4_PT3_21rocsparse_index_base_b
; %bb.0:
	s_clause 0x2
	s_load_b64 s[12:13], s[0:1], 0x40
	s_load_b64 s[4:5], s[0:1], 0x10
	;; [unrolled: 1-line block ×3, first 2 shown]
	s_wait_kmcnt 0x0
	s_bitcmp1_b32 s13, 0
	v_mov_b64_e32 v[2:3], s[4:5]
	s_cselect_b32 s6, -1, 0
	s_delay_alu instid0(SALU_CYCLE_1)
	s_and_b32 vcc_lo, exec_lo, s6
	s_xor_b32 s6, s6, -1
	s_cbranch_vccnz .LBB40_2
; %bb.1:
	v_mov_b32_e32 v1, 0
	flat_load_b64 v[2:3], v1, s[4:5]
.LBB40_2:
	v_mov_b64_e32 v[4:5], s[2:3]
	s_and_not1_b32 vcc_lo, exec_lo, s6
	s_cbranch_vccnz .LBB40_4
; %bb.3:
	s_wait_xcnt 0x0
	v_mov_b32_e32 v1, 0
	flat_load_b64 v[4:5], v1, s[2:3]
.LBB40_4:
	s_wait_loadcnt_dscnt 0x0
	v_cmp_neq_f64_e32 vcc_lo, 0, v[2:3]
	s_delay_alu instid0(VALU_DEP_2) | instskip(SKIP_1) | instid1(SALU_CYCLE_1)
	v_cmp_neq_f64_e64 s2, 1.0, v[4:5]
	s_or_b32 s2, vcc_lo, s2
	s_and_saveexec_b32 s3, s2
	s_cbranch_execz .LBB40_17
; %bb.5:
	s_load_b96 s[8:10], s[0:1], 0x0
	s_bfe_u32 s2, ttmp6, 0x4000c
	s_and_b32 s3, ttmp6, 15
	s_add_co_i32 s2, s2, 1
	s_getreg_b32 s4, hwreg(HW_REG_IB_STS2, 6, 4)
	s_mul_i32 s2, ttmp9, s2
	s_delay_alu instid0(SALU_CYCLE_1) | instskip(SKIP_2) | instid1(SALU_CYCLE_1)
	s_add_co_i32 s3, s3, s2
	s_cmp_eq_u32 s4, 0
	s_cselect_b32 s2, ttmp9, s3
	v_lshl_or_b32 v0, s2, 9, v0
	s_wait_kmcnt 0x0
	s_delay_alu instid0(VALU_DEP_1)
	v_cmp_gt_i32_e32 vcc_lo, s8, v0
	s_and_b32 exec_lo, exec_lo, vcc_lo
	s_cbranch_execz .LBB40_17
; %bb.6:
	s_load_b64 s[2:3], s[0:1], 0x38
	s_cmp_lt_i32 s10, 1
	s_cbranch_scc1 .LBB40_12
; %bb.7:
	s_clause 0x1
	s_load_b64 s[14:15], s[0:1], 0x28
	s_load_b128 s[4:7], s[0:1], 0x18
	v_ashrrev_i32_e32 v1, 31, v0
	s_add_co_i32 s10, s10, -1
	v_mov_b64_e32 v[6:7], 0
	s_wait_xcnt 0x0
	s_ashr_i32 s1, s8, 31
	s_mov_b32 s0, s8
	v_lshlrev_b64_e32 v[8:9], 2, v[0:1]
	v_mov_b32_e32 v1, s10
	s_lshl_b64 s[10:11], s[0:1], 2
	s_mov_b32 s1, 0
	s_branch .LBB40_9
.LBB40_8:                               ;   in Loop: Header=BB40_9 Depth=1
	s_or_b32 exec_lo, exec_lo, s8
	v_sub_co_u32 v1, s8, v1, 1
	v_add_nc_u64_e32 v[8:9], s[10:11], v[8:9]
	s_or_b32 s0, s0, s8
	s_delay_alu instid0(SALU_CYCLE_1) | instskip(NEXT) | instid1(SALU_CYCLE_1)
	s_and_b32 s0, exec_lo, s0
	s_or_b32 s1, s0, s1
	s_delay_alu instid0(SALU_CYCLE_1)
	s_and_not1_b32 exec_lo, exec_lo, s1
	s_cbranch_execz .LBB40_11
.LBB40_9:                               ; =>This Inner Loop Header: Depth=1
	s_wait_kmcnt 0x0
	s_delay_alu instid0(VALU_DEP_1) | instskip(SKIP_3) | instid1(VALU_DEP_1)
	v_add_nc_u64_e32 v[10:11], s[4:5], v[8:9]
	global_load_b32 v10, v[10:11], off th:TH_LOAD_NT
	s_wait_loadcnt 0x0
	v_subrev_nc_u32_e32 v10, s12, v10
	v_cmp_gt_i32_e32 vcc_lo, 0, v10
	v_cmp_le_i32_e64 s0, s9, v10
	s_or_b32 s0, vcc_lo, s0
	s_delay_alu instid0(SALU_CYCLE_1) | instskip(NEXT) | instid1(SALU_CYCLE_1)
	s_xor_b32 s13, s0, -1
	s_and_saveexec_b32 s8, s13
	s_cbranch_execz .LBB40_8
; %bb.10:                               ;   in Loop: Header=BB40_9 Depth=1
	v_add_nc_u64_e32 v[12:13], s[6:7], v[8:9]
	global_load_b32 v11, v[12:13], off th:TH_LOAD_NT
	global_load_b64 v[14:15], v10, s[14:15] scale_offset
	s_wait_loadcnt 0x1
	s_wait_xcnt 0x0
	v_cvt_f64_f32_e32 v[10:11], v11
	s_wait_loadcnt 0x0
	s_delay_alu instid0(VALU_DEP_1)
	v_fmac_f64_e32 v[6:7], v[10:11], v[14:15]
	s_branch .LBB40_8
.LBB40_11:
	s_or_b32 exec_lo, exec_lo, s1
	s_branch .LBB40_13
.LBB40_12:
	v_mov_b64_e32 v[6:7], 0
.LBB40_13:
	s_wait_xcnt 0x0
	s_mov_b32 s0, exec_lo
	v_cmpx_eq_f64_e32 0, v[4:5]
	s_xor_b32 s0, exec_lo, s0
	s_cbranch_execz .LBB40_15
; %bb.14:
	s_delay_alu instid0(VALU_DEP_2)
	v_mul_f64_e32 v[2:3], v[2:3], v[6:7]
                                        ; implicit-def: $vgpr6_vgpr7
                                        ; implicit-def: $vgpr4_vgpr5
	s_wait_kmcnt 0x0
	global_store_b64 v0, v[2:3], s[2:3] scale_offset th:TH_STORE_NT
                                        ; implicit-def: $vgpr0
                                        ; implicit-def: $vgpr2_vgpr3
.LBB40_15:
	s_wait_xcnt 0x0
	s_and_not1_saveexec_b32 s0, s0
	s_cbranch_execz .LBB40_17
; %bb.16:
	s_wait_kmcnt 0x0
	global_load_b64 v[8:9], v0, s[2:3] scale_offset th:TH_LOAD_NT
	v_mul_f64_e32 v[2:3], v[2:3], v[6:7]
	s_wait_loadcnt 0x0
	s_delay_alu instid0(VALU_DEP_1)
	v_fmac_f64_e32 v[2:3], v[4:5], v[8:9]
	global_store_b64 v0, v[2:3], s[2:3] scale_offset th:TH_STORE_NT
.LBB40_17:
	s_endpgm
	.section	.rodata,"a",@progbits
	.p2align	6, 0x0
	.amdhsa_kernel _ZN9rocsparseL13ellmvn_kernelILj512EifdddEEvT0_S1_S1_NS_24const_host_device_scalarIT4_EEPKS1_PKT1_PKT2_S4_PT3_21rocsparse_index_base_b
		.amdhsa_group_segment_fixed_size 0
		.amdhsa_private_segment_fixed_size 0
		.amdhsa_kernarg_size 72
		.amdhsa_user_sgpr_count 2
		.amdhsa_user_sgpr_dispatch_ptr 0
		.amdhsa_user_sgpr_queue_ptr 0
		.amdhsa_user_sgpr_kernarg_segment_ptr 1
		.amdhsa_user_sgpr_dispatch_id 0
		.amdhsa_user_sgpr_kernarg_preload_length 0
		.amdhsa_user_sgpr_kernarg_preload_offset 0
		.amdhsa_user_sgpr_private_segment_size 0
		.amdhsa_wavefront_size32 1
		.amdhsa_uses_dynamic_stack 0
		.amdhsa_enable_private_segment 0
		.amdhsa_system_sgpr_workgroup_id_x 1
		.amdhsa_system_sgpr_workgroup_id_y 0
		.amdhsa_system_sgpr_workgroup_id_z 0
		.amdhsa_system_sgpr_workgroup_info 0
		.amdhsa_system_vgpr_workitem_id 0
		.amdhsa_next_free_vgpr 16
		.amdhsa_next_free_sgpr 16
		.amdhsa_named_barrier_count 0
		.amdhsa_reserve_vcc 1
		.amdhsa_float_round_mode_32 0
		.amdhsa_float_round_mode_16_64 0
		.amdhsa_float_denorm_mode_32 3
		.amdhsa_float_denorm_mode_16_64 3
		.amdhsa_fp16_overflow 0
		.amdhsa_memory_ordered 1
		.amdhsa_forward_progress 1
		.amdhsa_inst_pref_size 5
		.amdhsa_round_robin_scheduling 0
		.amdhsa_exception_fp_ieee_invalid_op 0
		.amdhsa_exception_fp_denorm_src 0
		.amdhsa_exception_fp_ieee_div_zero 0
		.amdhsa_exception_fp_ieee_overflow 0
		.amdhsa_exception_fp_ieee_underflow 0
		.amdhsa_exception_fp_ieee_inexact 0
		.amdhsa_exception_int_div_zero 0
	.end_amdhsa_kernel
	.section	.text._ZN9rocsparseL13ellmvn_kernelILj512EifdddEEvT0_S1_S1_NS_24const_host_device_scalarIT4_EEPKS1_PKT1_PKT2_S4_PT3_21rocsparse_index_base_b,"axG",@progbits,_ZN9rocsparseL13ellmvn_kernelILj512EifdddEEvT0_S1_S1_NS_24const_host_device_scalarIT4_EEPKS1_PKT1_PKT2_S4_PT3_21rocsparse_index_base_b,comdat
.Lfunc_end40:
	.size	_ZN9rocsparseL13ellmvn_kernelILj512EifdddEEvT0_S1_S1_NS_24const_host_device_scalarIT4_EEPKS1_PKT1_PKT2_S4_PT3_21rocsparse_index_base_b, .Lfunc_end40-_ZN9rocsparseL13ellmvn_kernelILj512EifdddEEvT0_S1_S1_NS_24const_host_device_scalarIT4_EEPKS1_PKT1_PKT2_S4_PT3_21rocsparse_index_base_b
                                        ; -- End function
	.set _ZN9rocsparseL13ellmvn_kernelILj512EifdddEEvT0_S1_S1_NS_24const_host_device_scalarIT4_EEPKS1_PKT1_PKT2_S4_PT3_21rocsparse_index_base_b.num_vgpr, 16
	.set _ZN9rocsparseL13ellmvn_kernelILj512EifdddEEvT0_S1_S1_NS_24const_host_device_scalarIT4_EEPKS1_PKT1_PKT2_S4_PT3_21rocsparse_index_base_b.num_agpr, 0
	.set _ZN9rocsparseL13ellmvn_kernelILj512EifdddEEvT0_S1_S1_NS_24const_host_device_scalarIT4_EEPKS1_PKT1_PKT2_S4_PT3_21rocsparse_index_base_b.numbered_sgpr, 16
	.set _ZN9rocsparseL13ellmvn_kernelILj512EifdddEEvT0_S1_S1_NS_24const_host_device_scalarIT4_EEPKS1_PKT1_PKT2_S4_PT3_21rocsparse_index_base_b.num_named_barrier, 0
	.set _ZN9rocsparseL13ellmvn_kernelILj512EifdddEEvT0_S1_S1_NS_24const_host_device_scalarIT4_EEPKS1_PKT1_PKT2_S4_PT3_21rocsparse_index_base_b.private_seg_size, 0
	.set _ZN9rocsparseL13ellmvn_kernelILj512EifdddEEvT0_S1_S1_NS_24const_host_device_scalarIT4_EEPKS1_PKT1_PKT2_S4_PT3_21rocsparse_index_base_b.uses_vcc, 1
	.set _ZN9rocsparseL13ellmvn_kernelILj512EifdddEEvT0_S1_S1_NS_24const_host_device_scalarIT4_EEPKS1_PKT1_PKT2_S4_PT3_21rocsparse_index_base_b.uses_flat_scratch, 0
	.set _ZN9rocsparseL13ellmvn_kernelILj512EifdddEEvT0_S1_S1_NS_24const_host_device_scalarIT4_EEPKS1_PKT1_PKT2_S4_PT3_21rocsparse_index_base_b.has_dyn_sized_stack, 0
	.set _ZN9rocsparseL13ellmvn_kernelILj512EifdddEEvT0_S1_S1_NS_24const_host_device_scalarIT4_EEPKS1_PKT1_PKT2_S4_PT3_21rocsparse_index_base_b.has_recursion, 0
	.set _ZN9rocsparseL13ellmvn_kernelILj512EifdddEEvT0_S1_S1_NS_24const_host_device_scalarIT4_EEPKS1_PKT1_PKT2_S4_PT3_21rocsparse_index_base_b.has_indirect_call, 0
	.section	.AMDGPU.csdata,"",@progbits
; Kernel info:
; codeLenInByte = 576
; TotalNumSgprs: 18
; NumVgprs: 16
; ScratchSize: 0
; MemoryBound: 0
; FloatMode: 240
; IeeeMode: 1
; LDSByteSize: 0 bytes/workgroup (compile time only)
; SGPRBlocks: 0
; VGPRBlocks: 0
; NumSGPRsForWavesPerEU: 18
; NumVGPRsForWavesPerEU: 16
; NamedBarCnt: 0
; Occupancy: 16
; WaveLimiterHint : 1
; COMPUTE_PGM_RSRC2:SCRATCH_EN: 0
; COMPUTE_PGM_RSRC2:USER_SGPR: 2
; COMPUTE_PGM_RSRC2:TRAP_HANDLER: 0
; COMPUTE_PGM_RSRC2:TGID_X_EN: 1
; COMPUTE_PGM_RSRC2:TGID_Y_EN: 0
; COMPUTE_PGM_RSRC2:TGID_Z_EN: 0
; COMPUTE_PGM_RSRC2:TIDIG_COMP_CNT: 0
	.section	.text._ZN9rocsparseL13ellmvt_kernelILj1024EifdddEEv20rocsparse_operation_T0_S2_S2_NS_24const_host_device_scalarIT4_EEPKS2_PKT1_PKT2_PT3_21rocsparse_index_base_b,"axG",@progbits,_ZN9rocsparseL13ellmvt_kernelILj1024EifdddEEv20rocsparse_operation_T0_S2_S2_NS_24const_host_device_scalarIT4_EEPKS2_PKT1_PKT2_PT3_21rocsparse_index_base_b,comdat
	.globl	_ZN9rocsparseL13ellmvt_kernelILj1024EifdddEEv20rocsparse_operation_T0_S2_S2_NS_24const_host_device_scalarIT4_EEPKS2_PKT1_PKT2_PT3_21rocsparse_index_base_b ; -- Begin function _ZN9rocsparseL13ellmvt_kernelILj1024EifdddEEv20rocsparse_operation_T0_S2_S2_NS_24const_host_device_scalarIT4_EEPKS2_PKT1_PKT2_PT3_21rocsparse_index_base_b
	.p2align	8
	.type	_ZN9rocsparseL13ellmvt_kernelILj1024EifdddEEv20rocsparse_operation_T0_S2_S2_NS_24const_host_device_scalarIT4_EEPKS2_PKT1_PKT2_PT3_21rocsparse_index_base_b,@function
_ZN9rocsparseL13ellmvt_kernelILj1024EifdddEEv20rocsparse_operation_T0_S2_S2_NS_24const_host_device_scalarIT4_EEPKS2_PKT1_PKT2_PT3_21rocsparse_index_base_b: ; @_ZN9rocsparseL13ellmvt_kernelILj1024EifdddEEv20rocsparse_operation_T0_S2_S2_NS_24const_host_device_scalarIT4_EEPKS2_PKT1_PKT2_PT3_21rocsparse_index_base_b
; %bb.0:
	s_clause 0x1
	s_load_b64 s[2:3], s[0:1], 0x38
	s_load_b64 s[4:5], s[0:1], 0x10
	s_wait_kmcnt 0x0
	s_bitcmp1_b32 s3, 0
	v_mov_b64_e32 v[2:3], s[4:5]
	s_cselect_b32 s3, -1, 0
	s_delay_alu instid0(SALU_CYCLE_1)
	s_and_b32 vcc_lo, exec_lo, s3
	s_cbranch_vccnz .LBB41_2
; %bb.1:
	v_mov_b32_e32 v1, 0
	flat_load_b64 v[2:3], v1, s[4:5]
.LBB41_2:
	s_mov_b32 s3, exec_lo
	s_wait_loadcnt_dscnt 0x0
	s_delay_alu instid0(VALU_DEP_1)
	v_cmpx_neq_f64_e32 0, v[2:3]
	s_cbranch_execz .LBB41_9
; %bb.3:
	s_load_b96 s[12:14], s[0:1], 0x4
	s_bfe_u32 s3, ttmp6, 0x4000c
	s_and_b32 s4, ttmp6, 15
	s_add_co_i32 s3, s3, 1
	s_getreg_b32 s5, hwreg(HW_REG_IB_STS2, 6, 4)
	s_mul_i32 s3, ttmp9, s3
	s_delay_alu instid0(SALU_CYCLE_1) | instskip(SKIP_2) | instid1(SALU_CYCLE_1)
	s_add_co_i32 s4, s4, s3
	s_cmp_eq_u32 s5, 0
	s_cselect_b32 s3, ttmp9, s4
	v_lshl_or_b32 v4, s3, 10, v0
	s_wait_kmcnt 0x0
	s_delay_alu instid0(VALU_DEP_1)
	v_cmp_gt_i32_e32 vcc_lo, s12, v4
	s_and_b32 exec_lo, exec_lo, vcc_lo
	s_cbranch_execz .LBB41_9
; %bb.4:
	s_cmp_lt_i32 s14, 1
	s_cbranch_scc1 .LBB41_9
; %bb.5:
	s_load_b256 s[4:11], s[0:1], 0x18
	v_ashrrev_i32_e32 v5, 31, v4
	s_wait_xcnt 0x0
	s_ashr_i32 s1, s12, 31
	s_mov_b32 s0, s12
                                        ; implicit-def: $sgpr3
	s_wait_kmcnt 0x0
	global_load_b64 v[0:1], v4, s[8:9] scale_offset
	s_wait_xcnt 0x0
	s_lshl_b64 s[8:9], s[0:1], 2
	s_mov_b32 s1, 0
	s_wait_loadcnt 0x0
	v_mul_f64_e32 v[0:1], v[2:3], v[0:1]
	v_lshlrev_b64_e32 v[2:3], 2, v[4:5]
	s_branch .LBB41_7
.LBB41_6:                               ;   in Loop: Header=BB41_7 Depth=1
	s_wait_xcnt 0x0
	s_or_b32 exec_lo, exec_lo, s0
	s_delay_alu instid0(SALU_CYCLE_1) | instskip(NEXT) | instid1(SALU_CYCLE_1)
	s_and_b32 s0, exec_lo, s3
	s_or_b32 s1, s0, s1
	s_delay_alu instid0(SALU_CYCLE_1)
	s_and_not1_b32 exec_lo, exec_lo, s1
	s_cbranch_execz .LBB41_9
.LBB41_7:                               ; =>This Inner Loop Header: Depth=1
	s_delay_alu instid0(VALU_DEP_1)
	v_add_nc_u64_e32 v[4:5], s[4:5], v[2:3]
	s_or_b32 s3, s3, exec_lo
	global_load_b32 v4, v[4:5], off th:TH_LOAD_NT
	s_wait_loadcnt 0x0
	s_wait_xcnt 0x0
	v_subrev_nc_u32_e32 v4, s2, v4
	s_delay_alu instid0(VALU_DEP_1) | instskip(SKIP_2) | instid1(SALU_CYCLE_1)
	v_cmp_lt_i32_e32 vcc_lo, -1, v4
	v_cmp_gt_i32_e64 s0, s13, v4
	s_and_b32 s12, vcc_lo, s0
	s_and_saveexec_b32 s0, s12
	s_cbranch_execz .LBB41_6
; %bb.8:                                ;   in Loop: Header=BB41_7 Depth=1
	v_add_nc_u64_e32 v[6:7], s[6:7], v[2:3]
	s_add_co_i32 s14, s14, -1
	v_add_nc_u64_e32 v[2:3], s[8:9], v[2:3]
	s_cmp_eq_u32 s14, 0
	s_cselect_b32 s12, -1, 0
	s_and_not1_b32 s3, s3, exec_lo
	global_load_b32 v5, v[6:7], off th:TH_LOAD_NT
	s_and_b32 s12, s12, exec_lo
	s_delay_alu instid0(SALU_CYCLE_1) | instskip(SKIP_3) | instid1(VALU_DEP_1)
	s_or_b32 s3, s3, s12
	s_wait_loadcnt 0x0
	s_wait_xcnt 0x0
	v_cvt_f64_f32_e32 v[6:7], v5
	v_mul_f64_e32 v[6:7], v[0:1], v[6:7]
	global_atomic_add_f64 v4, v[6:7], s[10:11] scale_offset scope:SCOPE_DEV
	s_branch .LBB41_6
.LBB41_9:
	s_endpgm
	.section	.rodata,"a",@progbits
	.p2align	6, 0x0
	.amdhsa_kernel _ZN9rocsparseL13ellmvt_kernelILj1024EifdddEEv20rocsparse_operation_T0_S2_S2_NS_24const_host_device_scalarIT4_EEPKS2_PKT1_PKT2_PT3_21rocsparse_index_base_b
		.amdhsa_group_segment_fixed_size 0
		.amdhsa_private_segment_fixed_size 0
		.amdhsa_kernarg_size 64
		.amdhsa_user_sgpr_count 2
		.amdhsa_user_sgpr_dispatch_ptr 0
		.amdhsa_user_sgpr_queue_ptr 0
		.amdhsa_user_sgpr_kernarg_segment_ptr 1
		.amdhsa_user_sgpr_dispatch_id 0
		.amdhsa_user_sgpr_kernarg_preload_length 0
		.amdhsa_user_sgpr_kernarg_preload_offset 0
		.amdhsa_user_sgpr_private_segment_size 0
		.amdhsa_wavefront_size32 1
		.amdhsa_uses_dynamic_stack 0
		.amdhsa_enable_private_segment 0
		.amdhsa_system_sgpr_workgroup_id_x 1
		.amdhsa_system_sgpr_workgroup_id_y 0
		.amdhsa_system_sgpr_workgroup_id_z 0
		.amdhsa_system_sgpr_workgroup_info 0
		.amdhsa_system_vgpr_workitem_id 0
		.amdhsa_next_free_vgpr 8
		.amdhsa_next_free_sgpr 15
		.amdhsa_named_barrier_count 0
		.amdhsa_reserve_vcc 1
		.amdhsa_float_round_mode_32 0
		.amdhsa_float_round_mode_16_64 0
		.amdhsa_float_denorm_mode_32 3
		.amdhsa_float_denorm_mode_16_64 3
		.amdhsa_fp16_overflow 0
		.amdhsa_memory_ordered 1
		.amdhsa_forward_progress 1
		.amdhsa_inst_pref_size 4
		.amdhsa_round_robin_scheduling 0
		.amdhsa_exception_fp_ieee_invalid_op 0
		.amdhsa_exception_fp_denorm_src 0
		.amdhsa_exception_fp_ieee_div_zero 0
		.amdhsa_exception_fp_ieee_overflow 0
		.amdhsa_exception_fp_ieee_underflow 0
		.amdhsa_exception_fp_ieee_inexact 0
		.amdhsa_exception_int_div_zero 0
	.end_amdhsa_kernel
	.section	.text._ZN9rocsparseL13ellmvt_kernelILj1024EifdddEEv20rocsparse_operation_T0_S2_S2_NS_24const_host_device_scalarIT4_EEPKS2_PKT1_PKT2_PT3_21rocsparse_index_base_b,"axG",@progbits,_ZN9rocsparseL13ellmvt_kernelILj1024EifdddEEv20rocsparse_operation_T0_S2_S2_NS_24const_host_device_scalarIT4_EEPKS2_PKT1_PKT2_PT3_21rocsparse_index_base_b,comdat
.Lfunc_end41:
	.size	_ZN9rocsparseL13ellmvt_kernelILj1024EifdddEEv20rocsparse_operation_T0_S2_S2_NS_24const_host_device_scalarIT4_EEPKS2_PKT1_PKT2_PT3_21rocsparse_index_base_b, .Lfunc_end41-_ZN9rocsparseL13ellmvt_kernelILj1024EifdddEEv20rocsparse_operation_T0_S2_S2_NS_24const_host_device_scalarIT4_EEPKS2_PKT1_PKT2_PT3_21rocsparse_index_base_b
                                        ; -- End function
	.set _ZN9rocsparseL13ellmvt_kernelILj1024EifdddEEv20rocsparse_operation_T0_S2_S2_NS_24const_host_device_scalarIT4_EEPKS2_PKT1_PKT2_PT3_21rocsparse_index_base_b.num_vgpr, 8
	.set _ZN9rocsparseL13ellmvt_kernelILj1024EifdddEEv20rocsparse_operation_T0_S2_S2_NS_24const_host_device_scalarIT4_EEPKS2_PKT1_PKT2_PT3_21rocsparse_index_base_b.num_agpr, 0
	.set _ZN9rocsparseL13ellmvt_kernelILj1024EifdddEEv20rocsparse_operation_T0_S2_S2_NS_24const_host_device_scalarIT4_EEPKS2_PKT1_PKT2_PT3_21rocsparse_index_base_b.numbered_sgpr, 15
	.set _ZN9rocsparseL13ellmvt_kernelILj1024EifdddEEv20rocsparse_operation_T0_S2_S2_NS_24const_host_device_scalarIT4_EEPKS2_PKT1_PKT2_PT3_21rocsparse_index_base_b.num_named_barrier, 0
	.set _ZN9rocsparseL13ellmvt_kernelILj1024EifdddEEv20rocsparse_operation_T0_S2_S2_NS_24const_host_device_scalarIT4_EEPKS2_PKT1_PKT2_PT3_21rocsparse_index_base_b.private_seg_size, 0
	.set _ZN9rocsparseL13ellmvt_kernelILj1024EifdddEEv20rocsparse_operation_T0_S2_S2_NS_24const_host_device_scalarIT4_EEPKS2_PKT1_PKT2_PT3_21rocsparse_index_base_b.uses_vcc, 1
	.set _ZN9rocsparseL13ellmvt_kernelILj1024EifdddEEv20rocsparse_operation_T0_S2_S2_NS_24const_host_device_scalarIT4_EEPKS2_PKT1_PKT2_PT3_21rocsparse_index_base_b.uses_flat_scratch, 0
	.set _ZN9rocsparseL13ellmvt_kernelILj1024EifdddEEv20rocsparse_operation_T0_S2_S2_NS_24const_host_device_scalarIT4_EEPKS2_PKT1_PKT2_PT3_21rocsparse_index_base_b.has_dyn_sized_stack, 0
	.set _ZN9rocsparseL13ellmvt_kernelILj1024EifdddEEv20rocsparse_operation_T0_S2_S2_NS_24const_host_device_scalarIT4_EEPKS2_PKT1_PKT2_PT3_21rocsparse_index_base_b.has_recursion, 0
	.set _ZN9rocsparseL13ellmvt_kernelILj1024EifdddEEv20rocsparse_operation_T0_S2_S2_NS_24const_host_device_scalarIT4_EEPKS2_PKT1_PKT2_PT3_21rocsparse_index_base_b.has_indirect_call, 0
	.section	.AMDGPU.csdata,"",@progbits
; Kernel info:
; codeLenInByte = 416
; TotalNumSgprs: 17
; NumVgprs: 8
; ScratchSize: 0
; MemoryBound: 0
; FloatMode: 240
; IeeeMode: 1
; LDSByteSize: 0 bytes/workgroup (compile time only)
; SGPRBlocks: 0
; VGPRBlocks: 0
; NumSGPRsForWavesPerEU: 17
; NumVGPRsForWavesPerEU: 8
; NamedBarCnt: 0
; Occupancy: 16
; WaveLimiterHint : 1
; COMPUTE_PGM_RSRC2:SCRATCH_EN: 0
; COMPUTE_PGM_RSRC2:USER_SGPR: 2
; COMPUTE_PGM_RSRC2:TRAP_HANDLER: 0
; COMPUTE_PGM_RSRC2:TGID_X_EN: 1
; COMPUTE_PGM_RSRC2:TGID_Y_EN: 0
; COMPUTE_PGM_RSRC2:TGID_Z_EN: 0
; COMPUTE_PGM_RSRC2:TIDIG_COMP_CNT: 0
	.section	.text._ZN9rocsparseL13ellmvn_kernelILj512ElfdddEEvT0_S1_S1_NS_24const_host_device_scalarIT4_EEPKS1_PKT1_PKT2_S4_PT3_21rocsparse_index_base_b,"axG",@progbits,_ZN9rocsparseL13ellmvn_kernelILj512ElfdddEEvT0_S1_S1_NS_24const_host_device_scalarIT4_EEPKS1_PKT1_PKT2_S4_PT3_21rocsparse_index_base_b,comdat
	.globl	_ZN9rocsparseL13ellmvn_kernelILj512ElfdddEEvT0_S1_S1_NS_24const_host_device_scalarIT4_EEPKS1_PKT1_PKT2_S4_PT3_21rocsparse_index_base_b ; -- Begin function _ZN9rocsparseL13ellmvn_kernelILj512ElfdddEEvT0_S1_S1_NS_24const_host_device_scalarIT4_EEPKS1_PKT1_PKT2_S4_PT3_21rocsparse_index_base_b
	.p2align	8
	.type	_ZN9rocsparseL13ellmvn_kernelILj512ElfdddEEvT0_S1_S1_NS_24const_host_device_scalarIT4_EEPKS1_PKT1_PKT2_S4_PT3_21rocsparse_index_base_b,@function
_ZN9rocsparseL13ellmvn_kernelILj512ElfdddEEvT0_S1_S1_NS_24const_host_device_scalarIT4_EEPKS1_PKT1_PKT2_S4_PT3_21rocsparse_index_base_b: ; @_ZN9rocsparseL13ellmvn_kernelILj512ElfdddEEvT0_S1_S1_NS_24const_host_device_scalarIT4_EEPKS1_PKT1_PKT2_S4_PT3_21rocsparse_index_base_b
; %bb.0:
	s_clause 0x2
	s_load_b64 s[12:13], s[0:1], 0x48
	s_load_b256 s[4:11], s[0:1], 0x0
	s_load_b64 s[2:3], s[0:1], 0x38
	s_wait_kmcnt 0x0
	s_bitcmp1_b32 s13, 0
	v_mov_b64_e32 v[2:3], s[10:11]
	s_cselect_b32 s13, -1, 0
	s_delay_alu instid0(SALU_CYCLE_1)
	s_and_b32 vcc_lo, exec_lo, s13
	s_xor_b32 s13, s13, -1
	s_cbranch_vccnz .LBB42_2
; %bb.1:
	v_mov_b32_e32 v1, 0
	flat_load_b64 v[2:3], v1, s[10:11]
.LBB42_2:
	v_mov_b64_e32 v[4:5], s[2:3]
	s_and_not1_b32 vcc_lo, exec_lo, s13
	s_cbranch_vccnz .LBB42_4
; %bb.3:
	s_wait_xcnt 0x0
	v_mov_b32_e32 v1, 0
	flat_load_b64 v[4:5], v1, s[2:3]
.LBB42_4:
	s_wait_loadcnt_dscnt 0x0
	v_cmp_neq_f64_e32 vcc_lo, 0, v[2:3]
	s_delay_alu instid0(VALU_DEP_2) | instskip(SKIP_1) | instid1(SALU_CYCLE_1)
	v_cmp_neq_f64_e64 s2, 1.0, v[4:5]
	s_or_b32 s2, vcc_lo, s2
	s_and_saveexec_b32 s3, s2
	s_cbranch_execz .LBB42_17
; %bb.5:
	s_bfe_u32 s2, ttmp6, 0x4000c
	s_and_b32 s3, ttmp6, 15
	s_add_co_i32 s2, s2, 1
	s_getreg_b32 s10, hwreg(HW_REG_IB_STS2, 6, 4)
	s_mul_i32 s2, ttmp9, s2
	v_mov_b32_e32 v1, 0
	s_add_co_i32 s3, s3, s2
	s_cmp_eq_u32 s10, 0
	s_cselect_b32 s2, ttmp9, s3
	s_delay_alu instid0(SALU_CYCLE_1) | instskip(NEXT) | instid1(VALU_DEP_1)
	v_lshl_or_b32 v0, s2, 9, v0
	v_cmp_gt_i64_e32 vcc_lo, s[4:5], v[0:1]
	s_and_b32 exec_lo, exec_lo, vcc_lo
	s_cbranch_execz .LBB42_17
; %bb.6:
	v_cmp_lt_i64_e64 s2, s[8:9], 1
	s_and_b32 vcc_lo, exec_lo, s2
	s_cbranch_vccnz .LBB42_12
; %bb.7:
	s_clause 0x1
	s_load_b128 s[16:19], s[0:1], 0x20
	s_load_b64 s[10:11], s[0:1], 0x30
	v_mov_b64_e32 v[6:7], 0
	s_mov_b32 s13, 0
	s_add_nc_u64 s[8:9], s[8:9], -1
	s_lshl_b64 s[14:15], s[4:5], 3
	s_lshl_b64 s[4:5], s[4:5], 2
	s_mov_b32 s3, s13
	s_wait_kmcnt 0x0
	v_lshl_add_u64 v[8:9], v[0:1], 3, s[16:17]
	v_lshl_add_u64 v[10:11], v[0:1], 2, s[18:19]
	s_branch .LBB42_9
.LBB42_8:                               ;   in Loop: Header=BB42_9 Depth=1
	s_or_b32 exec_lo, exec_lo, s16
	s_cmp_eq_u64 s[8:9], 0
	v_add_nc_u64_e32 v[8:9], s[14:15], v[8:9]
	s_cselect_b32 s16, -1, 0
	v_add_nc_u64_e32 v[10:11], s[4:5], v[10:11]
	s_or_b32 s2, s2, s16
	s_add_nc_u64 s[8:9], s[8:9], -1
	s_and_b32 s2, exec_lo, s2
	s_delay_alu instid0(SALU_CYCLE_1) | instskip(NEXT) | instid1(SALU_CYCLE_1)
	s_or_b32 s3, s2, s3
	s_and_not1_b32 exec_lo, exec_lo, s3
	s_cbranch_execz .LBB42_11
.LBB42_9:                               ; =>This Inner Loop Header: Depth=1
	global_load_b64 v[12:13], v[8:9], off th:TH_LOAD_NT
	s_wait_loadcnt 0x0
	v_sub_nc_u64_e64 v[12:13], v[12:13], s[12:13]
	s_delay_alu instid0(VALU_DEP_1) | instskip(SKIP_2) | instid1(SALU_CYCLE_1)
	v_cmp_gt_i64_e32 vcc_lo, 0, v[12:13]
	v_cmp_le_i64_e64 s2, s[6:7], v[12:13]
	s_or_b32 s2, vcc_lo, s2
	s_xor_b32 s17, s2, -1
	s_delay_alu instid0(SALU_CYCLE_1)
	s_and_saveexec_b32 s16, s17
	s_cbranch_execz .LBB42_8
; %bb.10:                               ;   in Loop: Header=BB42_9 Depth=1
	global_load_b32 v14, v[10:11], off th:TH_LOAD_NT
	v_lshl_add_u64 v[12:13], v[12:13], 3, s[10:11]
	global_load_b64 v[12:13], v[12:13], off
	s_wait_loadcnt 0x1
	v_cvt_f64_f32_e32 v[14:15], v14
	s_wait_loadcnt 0x0
	s_delay_alu instid0(VALU_DEP_1)
	v_fmac_f64_e32 v[6:7], v[14:15], v[12:13]
	s_branch .LBB42_8
.LBB42_11:
	s_or_b32 exec_lo, exec_lo, s3
	s_branch .LBB42_13
.LBB42_12:
	v_mov_b64_e32 v[6:7], 0
.LBB42_13:
	s_load_b64 s[0:1], s[0:1], 0x40
	s_mov_b32 s2, exec_lo
	v_cmpx_eq_f64_e32 0, v[4:5]
	s_xor_b32 s2, exec_lo, s2
	s_cbranch_execz .LBB42_15
; %bb.14:
	s_delay_alu instid0(VALU_DEP_2)
	v_mul_f64_e32 v[2:3], v[2:3], v[6:7]
	s_wait_kmcnt 0x0
	v_lshl_add_u64 v[0:1], v[0:1], 3, s[0:1]
                                        ; implicit-def: $vgpr6_vgpr7
                                        ; implicit-def: $vgpr4_vgpr5
	global_store_b64 v[0:1], v[2:3], off th:TH_STORE_NT
                                        ; implicit-def: $vgpr0_vgpr1
                                        ; implicit-def: $vgpr2_vgpr3
.LBB42_15:
	s_wait_xcnt 0x0
	s_and_not1_saveexec_b32 s2, s2
	s_cbranch_execz .LBB42_17
; %bb.16:
	s_wait_kmcnt 0x0
	v_lshl_add_u64 v[0:1], v[0:1], 3, s[0:1]
	s_delay_alu instid0(VALU_DEP_3)
	v_mul_f64_e32 v[2:3], v[2:3], v[6:7]
	global_load_b64 v[8:9], v[0:1], off th:TH_LOAD_NT
	s_wait_loadcnt 0x0
	v_fmac_f64_e32 v[2:3], v[4:5], v[8:9]
	global_store_b64 v[0:1], v[2:3], off th:TH_STORE_NT
.LBB42_17:
	s_endpgm
	.section	.rodata,"a",@progbits
	.p2align	6, 0x0
	.amdhsa_kernel _ZN9rocsparseL13ellmvn_kernelILj512ElfdddEEvT0_S1_S1_NS_24const_host_device_scalarIT4_EEPKS1_PKT1_PKT2_S4_PT3_21rocsparse_index_base_b
		.amdhsa_group_segment_fixed_size 0
		.amdhsa_private_segment_fixed_size 0
		.amdhsa_kernarg_size 80
		.amdhsa_user_sgpr_count 2
		.amdhsa_user_sgpr_dispatch_ptr 0
		.amdhsa_user_sgpr_queue_ptr 0
		.amdhsa_user_sgpr_kernarg_segment_ptr 1
		.amdhsa_user_sgpr_dispatch_id 0
		.amdhsa_user_sgpr_kernarg_preload_length 0
		.amdhsa_user_sgpr_kernarg_preload_offset 0
		.amdhsa_user_sgpr_private_segment_size 0
		.amdhsa_wavefront_size32 1
		.amdhsa_uses_dynamic_stack 0
		.amdhsa_enable_private_segment 0
		.amdhsa_system_sgpr_workgroup_id_x 1
		.amdhsa_system_sgpr_workgroup_id_y 0
		.amdhsa_system_sgpr_workgroup_id_z 0
		.amdhsa_system_sgpr_workgroup_info 0
		.amdhsa_system_vgpr_workitem_id 0
		.amdhsa_next_free_vgpr 16
		.amdhsa_next_free_sgpr 20
		.amdhsa_named_barrier_count 0
		.amdhsa_reserve_vcc 1
		.amdhsa_float_round_mode_32 0
		.amdhsa_float_round_mode_16_64 0
		.amdhsa_float_denorm_mode_32 3
		.amdhsa_float_denorm_mode_16_64 3
		.amdhsa_fp16_overflow 0
		.amdhsa_memory_ordered 1
		.amdhsa_forward_progress 1
		.amdhsa_inst_pref_size 5
		.amdhsa_round_robin_scheduling 0
		.amdhsa_exception_fp_ieee_invalid_op 0
		.amdhsa_exception_fp_denorm_src 0
		.amdhsa_exception_fp_ieee_div_zero 0
		.amdhsa_exception_fp_ieee_overflow 0
		.amdhsa_exception_fp_ieee_underflow 0
		.amdhsa_exception_fp_ieee_inexact 0
		.amdhsa_exception_int_div_zero 0
	.end_amdhsa_kernel
	.section	.text._ZN9rocsparseL13ellmvn_kernelILj512ElfdddEEvT0_S1_S1_NS_24const_host_device_scalarIT4_EEPKS1_PKT1_PKT2_S4_PT3_21rocsparse_index_base_b,"axG",@progbits,_ZN9rocsparseL13ellmvn_kernelILj512ElfdddEEvT0_S1_S1_NS_24const_host_device_scalarIT4_EEPKS1_PKT1_PKT2_S4_PT3_21rocsparse_index_base_b,comdat
.Lfunc_end42:
	.size	_ZN9rocsparseL13ellmvn_kernelILj512ElfdddEEvT0_S1_S1_NS_24const_host_device_scalarIT4_EEPKS1_PKT1_PKT2_S4_PT3_21rocsparse_index_base_b, .Lfunc_end42-_ZN9rocsparseL13ellmvn_kernelILj512ElfdddEEvT0_S1_S1_NS_24const_host_device_scalarIT4_EEPKS1_PKT1_PKT2_S4_PT3_21rocsparse_index_base_b
                                        ; -- End function
	.set _ZN9rocsparseL13ellmvn_kernelILj512ElfdddEEvT0_S1_S1_NS_24const_host_device_scalarIT4_EEPKS1_PKT1_PKT2_S4_PT3_21rocsparse_index_base_b.num_vgpr, 16
	.set _ZN9rocsparseL13ellmvn_kernelILj512ElfdddEEvT0_S1_S1_NS_24const_host_device_scalarIT4_EEPKS1_PKT1_PKT2_S4_PT3_21rocsparse_index_base_b.num_agpr, 0
	.set _ZN9rocsparseL13ellmvn_kernelILj512ElfdddEEvT0_S1_S1_NS_24const_host_device_scalarIT4_EEPKS1_PKT1_PKT2_S4_PT3_21rocsparse_index_base_b.numbered_sgpr, 20
	.set _ZN9rocsparseL13ellmvn_kernelILj512ElfdddEEvT0_S1_S1_NS_24const_host_device_scalarIT4_EEPKS1_PKT1_PKT2_S4_PT3_21rocsparse_index_base_b.num_named_barrier, 0
	.set _ZN9rocsparseL13ellmvn_kernelILj512ElfdddEEvT0_S1_S1_NS_24const_host_device_scalarIT4_EEPKS1_PKT1_PKT2_S4_PT3_21rocsparse_index_base_b.private_seg_size, 0
	.set _ZN9rocsparseL13ellmvn_kernelILj512ElfdddEEvT0_S1_S1_NS_24const_host_device_scalarIT4_EEPKS1_PKT1_PKT2_S4_PT3_21rocsparse_index_base_b.uses_vcc, 1
	.set _ZN9rocsparseL13ellmvn_kernelILj512ElfdddEEvT0_S1_S1_NS_24const_host_device_scalarIT4_EEPKS1_PKT1_PKT2_S4_PT3_21rocsparse_index_base_b.uses_flat_scratch, 0
	.set _ZN9rocsparseL13ellmvn_kernelILj512ElfdddEEvT0_S1_S1_NS_24const_host_device_scalarIT4_EEPKS1_PKT1_PKT2_S4_PT3_21rocsparse_index_base_b.has_dyn_sized_stack, 0
	.set _ZN9rocsparseL13ellmvn_kernelILj512ElfdddEEvT0_S1_S1_NS_24const_host_device_scalarIT4_EEPKS1_PKT1_PKT2_S4_PT3_21rocsparse_index_base_b.has_recursion, 0
	.set _ZN9rocsparseL13ellmvn_kernelILj512ElfdddEEvT0_S1_S1_NS_24const_host_device_scalarIT4_EEPKS1_PKT1_PKT2_S4_PT3_21rocsparse_index_base_b.has_indirect_call, 0
	.section	.AMDGPU.csdata,"",@progbits
; Kernel info:
; codeLenInByte = 588
; TotalNumSgprs: 22
; NumVgprs: 16
; ScratchSize: 0
; MemoryBound: 0
; FloatMode: 240
; IeeeMode: 1
; LDSByteSize: 0 bytes/workgroup (compile time only)
; SGPRBlocks: 0
; VGPRBlocks: 0
; NumSGPRsForWavesPerEU: 22
; NumVGPRsForWavesPerEU: 16
; NamedBarCnt: 0
; Occupancy: 16
; WaveLimiterHint : 1
; COMPUTE_PGM_RSRC2:SCRATCH_EN: 0
; COMPUTE_PGM_RSRC2:USER_SGPR: 2
; COMPUTE_PGM_RSRC2:TRAP_HANDLER: 0
; COMPUTE_PGM_RSRC2:TGID_X_EN: 1
; COMPUTE_PGM_RSRC2:TGID_Y_EN: 0
; COMPUTE_PGM_RSRC2:TGID_Z_EN: 0
; COMPUTE_PGM_RSRC2:TIDIG_COMP_CNT: 0
	.section	.text._ZN9rocsparseL13ellmvt_kernelILj1024ElfdddEEv20rocsparse_operation_T0_S2_S2_NS_24const_host_device_scalarIT4_EEPKS2_PKT1_PKT2_PT3_21rocsparse_index_base_b,"axG",@progbits,_ZN9rocsparseL13ellmvt_kernelILj1024ElfdddEEv20rocsparse_operation_T0_S2_S2_NS_24const_host_device_scalarIT4_EEPKS2_PKT1_PKT2_PT3_21rocsparse_index_base_b,comdat
	.globl	_ZN9rocsparseL13ellmvt_kernelILj1024ElfdddEEv20rocsparse_operation_T0_S2_S2_NS_24const_host_device_scalarIT4_EEPKS2_PKT1_PKT2_PT3_21rocsparse_index_base_b ; -- Begin function _ZN9rocsparseL13ellmvt_kernelILj1024ElfdddEEv20rocsparse_operation_T0_S2_S2_NS_24const_host_device_scalarIT4_EEPKS2_PKT1_PKT2_PT3_21rocsparse_index_base_b
	.p2align	8
	.type	_ZN9rocsparseL13ellmvt_kernelILj1024ElfdddEEv20rocsparse_operation_T0_S2_S2_NS_24const_host_device_scalarIT4_EEPKS2_PKT1_PKT2_PT3_21rocsparse_index_base_b,@function
_ZN9rocsparseL13ellmvt_kernelILj1024ElfdddEEv20rocsparse_operation_T0_S2_S2_NS_24const_host_device_scalarIT4_EEPKS2_PKT1_PKT2_PT3_21rocsparse_index_base_b: ; @_ZN9rocsparseL13ellmvt_kernelILj1024ElfdddEEv20rocsparse_operation_T0_S2_S2_NS_24const_host_device_scalarIT4_EEPKS2_PKT1_PKT2_PT3_21rocsparse_index_base_b
; %bb.0:
	s_clause 0x1
	s_load_b64 s[2:3], s[0:1], 0x48
	s_load_b256 s[4:11], s[0:1], 0x8
	s_wait_kmcnt 0x0
	s_bitcmp1_b32 s3, 0
	v_mov_b64_e32 v[2:3], s[10:11]
	s_cselect_b32 s3, -1, 0
	s_delay_alu instid0(SALU_CYCLE_1)
	s_and_b32 vcc_lo, exec_lo, s3
	s_cbranch_vccnz .LBB43_2
; %bb.1:
	v_mov_b32_e32 v1, 0
	flat_load_b64 v[2:3], v1, s[10:11]
.LBB43_2:
	s_mov_b32 s3, exec_lo
	s_wait_loadcnt_dscnt 0x0
	s_delay_alu instid0(VALU_DEP_1)
	v_cmpx_neq_f64_e32 0, v[2:3]
	s_cbranch_execz .LBB43_9
; %bb.3:
	s_bfe_u32 s3, ttmp6, 0x4000c
	s_and_b32 s10, ttmp6, 15
	s_add_co_i32 s3, s3, 1
	s_getreg_b32 s11, hwreg(HW_REG_IB_STS2, 6, 4)
	s_mul_i32 s3, ttmp9, s3
	v_mov_b32_e32 v5, 0
	s_add_co_i32 s10, s10, s3
	s_cmp_eq_u32 s11, 0
	s_cselect_b32 s3, ttmp9, s10
	s_delay_alu instid0(SALU_CYCLE_1) | instskip(NEXT) | instid1(VALU_DEP_1)
	v_lshl_or_b32 v4, s3, 10, v0
	v_cmp_gt_i64_e32 vcc_lo, s[4:5], v[4:5]
	s_and_b32 exec_lo, exec_lo, vcc_lo
	s_cbranch_execz .LBB43_9
; %bb.4:
	v_cmp_lt_i64_e64 s3, s[8:9], 1
	s_and_b32 vcc_lo, exec_lo, s3
	s_cbranch_vccnz .LBB43_9
; %bb.5:
	s_load_b256 s[12:19], s[0:1], 0x28
	v_lshlrev_b64_e32 v[6:7], 3, v[4:5]
	s_mov_b32 s3, 0
	s_lshl_b64 s[10:11], s[4:5], 3
	s_lshl_b64 s[4:5], s[4:5], 2
	s_wait_xcnt 0x0
	s_mov_b32 s1, s3
	s_wait_kmcnt 0x0
	v_add_nc_u64_e32 v[0:1], s[16:17], v[6:7]
	v_lshl_add_u64 v[4:5], v[4:5], 2, s[14:15]
	global_load_b64 v[0:1], v[0:1], off
	s_wait_loadcnt 0x0
	v_mul_f64_e32 v[0:1], v[2:3], v[0:1]
	v_add_nc_u64_e32 v[2:3], s[12:13], v[6:7]
                                        ; implicit-def: $sgpr12
	s_branch .LBB43_7
.LBB43_6:                               ;   in Loop: Header=BB43_7 Depth=1
	s_wait_xcnt 0x0
	s_or_b32 exec_lo, exec_lo, s0
	s_delay_alu instid0(SALU_CYCLE_1) | instskip(NEXT) | instid1(SALU_CYCLE_1)
	s_and_b32 s0, exec_lo, s12
	s_or_b32 s1, s0, s1
	s_delay_alu instid0(SALU_CYCLE_1)
	s_and_not1_b32 exec_lo, exec_lo, s1
	s_cbranch_execz .LBB43_9
.LBB43_7:                               ; =>This Inner Loop Header: Depth=1
	global_load_b64 v[6:7], v[2:3], off th:TH_LOAD_NT
	s_or_b32 s12, s12, exec_lo
	s_wait_loadcnt 0x0
	v_sub_nc_u64_e64 v[6:7], v[6:7], s[2:3]
	s_delay_alu instid0(VALU_DEP_1)
	v_cmp_lt_i64_e32 vcc_lo, -1, v[6:7]
	v_cmp_gt_i64_e64 s0, s[6:7], v[6:7]
	s_and_b32 s13, vcc_lo, s0
	s_wait_xcnt 0x0
	s_and_saveexec_b32 s0, s13
	s_cbranch_execz .LBB43_6
; %bb.8:                                ;   in Loop: Header=BB43_7 Depth=1
	global_load_b32 v8, v[4:5], off th:TH_LOAD_NT
	v_lshl_add_u64 v[6:7], v[6:7], 3, s[18:19]
	s_add_nc_u64 s[8:9], s[8:9], -1
	v_add_nc_u64_e32 v[2:3], s[10:11], v[2:3]
	s_cmp_eq_u64 s[8:9], 0
	s_wait_xcnt 0x0
	v_add_nc_u64_e32 v[4:5], s[4:5], v[4:5]
	s_cselect_b32 s13, -1, 0
	s_and_not1_b32 s12, s12, exec_lo
	s_and_b32 s13, s13, exec_lo
	s_delay_alu instid0(SALU_CYCLE_1) | instskip(SKIP_2) | instid1(VALU_DEP_1)
	s_or_b32 s12, s12, s13
	s_wait_loadcnt 0x0
	v_cvt_f64_f32_e32 v[8:9], v8
	v_mul_f64_e32 v[8:9], v[0:1], v[8:9]
	global_atomic_add_f64 v[6:7], v[8:9], off scope:SCOPE_DEV
	s_branch .LBB43_6
.LBB43_9:
	s_endpgm
	.section	.rodata,"a",@progbits
	.p2align	6, 0x0
	.amdhsa_kernel _ZN9rocsparseL13ellmvt_kernelILj1024ElfdddEEv20rocsparse_operation_T0_S2_S2_NS_24const_host_device_scalarIT4_EEPKS2_PKT1_PKT2_PT3_21rocsparse_index_base_b
		.amdhsa_group_segment_fixed_size 0
		.amdhsa_private_segment_fixed_size 0
		.amdhsa_kernarg_size 80
		.amdhsa_user_sgpr_count 2
		.amdhsa_user_sgpr_dispatch_ptr 0
		.amdhsa_user_sgpr_queue_ptr 0
		.amdhsa_user_sgpr_kernarg_segment_ptr 1
		.amdhsa_user_sgpr_dispatch_id 0
		.amdhsa_user_sgpr_kernarg_preload_length 0
		.amdhsa_user_sgpr_kernarg_preload_offset 0
		.amdhsa_user_sgpr_private_segment_size 0
		.amdhsa_wavefront_size32 1
		.amdhsa_uses_dynamic_stack 0
		.amdhsa_enable_private_segment 0
		.amdhsa_system_sgpr_workgroup_id_x 1
		.amdhsa_system_sgpr_workgroup_id_y 0
		.amdhsa_system_sgpr_workgroup_id_z 0
		.amdhsa_system_sgpr_workgroup_info 0
		.amdhsa_system_vgpr_workitem_id 0
		.amdhsa_next_free_vgpr 10
		.amdhsa_next_free_sgpr 20
		.amdhsa_named_barrier_count 0
		.amdhsa_reserve_vcc 1
		.amdhsa_float_round_mode_32 0
		.amdhsa_float_round_mode_16_64 0
		.amdhsa_float_denorm_mode_32 3
		.amdhsa_float_denorm_mode_16_64 3
		.amdhsa_fp16_overflow 0
		.amdhsa_memory_ordered 1
		.amdhsa_forward_progress 1
		.amdhsa_inst_pref_size 4
		.amdhsa_round_robin_scheduling 0
		.amdhsa_exception_fp_ieee_invalid_op 0
		.amdhsa_exception_fp_denorm_src 0
		.amdhsa_exception_fp_ieee_div_zero 0
		.amdhsa_exception_fp_ieee_overflow 0
		.amdhsa_exception_fp_ieee_underflow 0
		.amdhsa_exception_fp_ieee_inexact 0
		.amdhsa_exception_int_div_zero 0
	.end_amdhsa_kernel
	.section	.text._ZN9rocsparseL13ellmvt_kernelILj1024ElfdddEEv20rocsparse_operation_T0_S2_S2_NS_24const_host_device_scalarIT4_EEPKS2_PKT1_PKT2_PT3_21rocsparse_index_base_b,"axG",@progbits,_ZN9rocsparseL13ellmvt_kernelILj1024ElfdddEEv20rocsparse_operation_T0_S2_S2_NS_24const_host_device_scalarIT4_EEPKS2_PKT1_PKT2_PT3_21rocsparse_index_base_b,comdat
.Lfunc_end43:
	.size	_ZN9rocsparseL13ellmvt_kernelILj1024ElfdddEEv20rocsparse_operation_T0_S2_S2_NS_24const_host_device_scalarIT4_EEPKS2_PKT1_PKT2_PT3_21rocsparse_index_base_b, .Lfunc_end43-_ZN9rocsparseL13ellmvt_kernelILj1024ElfdddEEv20rocsparse_operation_T0_S2_S2_NS_24const_host_device_scalarIT4_EEPKS2_PKT1_PKT2_PT3_21rocsparse_index_base_b
                                        ; -- End function
	.set _ZN9rocsparseL13ellmvt_kernelILj1024ElfdddEEv20rocsparse_operation_T0_S2_S2_NS_24const_host_device_scalarIT4_EEPKS2_PKT1_PKT2_PT3_21rocsparse_index_base_b.num_vgpr, 10
	.set _ZN9rocsparseL13ellmvt_kernelILj1024ElfdddEEv20rocsparse_operation_T0_S2_S2_NS_24const_host_device_scalarIT4_EEPKS2_PKT1_PKT2_PT3_21rocsparse_index_base_b.num_agpr, 0
	.set _ZN9rocsparseL13ellmvt_kernelILj1024ElfdddEEv20rocsparse_operation_T0_S2_S2_NS_24const_host_device_scalarIT4_EEPKS2_PKT1_PKT2_PT3_21rocsparse_index_base_b.numbered_sgpr, 20
	.set _ZN9rocsparseL13ellmvt_kernelILj1024ElfdddEEv20rocsparse_operation_T0_S2_S2_NS_24const_host_device_scalarIT4_EEPKS2_PKT1_PKT2_PT3_21rocsparse_index_base_b.num_named_barrier, 0
	.set _ZN9rocsparseL13ellmvt_kernelILj1024ElfdddEEv20rocsparse_operation_T0_S2_S2_NS_24const_host_device_scalarIT4_EEPKS2_PKT1_PKT2_PT3_21rocsparse_index_base_b.private_seg_size, 0
	.set _ZN9rocsparseL13ellmvt_kernelILj1024ElfdddEEv20rocsparse_operation_T0_S2_S2_NS_24const_host_device_scalarIT4_EEPKS2_PKT1_PKT2_PT3_21rocsparse_index_base_b.uses_vcc, 1
	.set _ZN9rocsparseL13ellmvt_kernelILj1024ElfdddEEv20rocsparse_operation_T0_S2_S2_NS_24const_host_device_scalarIT4_EEPKS2_PKT1_PKT2_PT3_21rocsparse_index_base_b.uses_flat_scratch, 0
	.set _ZN9rocsparseL13ellmvt_kernelILj1024ElfdddEEv20rocsparse_operation_T0_S2_S2_NS_24const_host_device_scalarIT4_EEPKS2_PKT1_PKT2_PT3_21rocsparse_index_base_b.has_dyn_sized_stack, 0
	.set _ZN9rocsparseL13ellmvt_kernelILj1024ElfdddEEv20rocsparse_operation_T0_S2_S2_NS_24const_host_device_scalarIT4_EEPKS2_PKT1_PKT2_PT3_21rocsparse_index_base_b.has_recursion, 0
	.set _ZN9rocsparseL13ellmvt_kernelILj1024ElfdddEEv20rocsparse_operation_T0_S2_S2_NS_24const_host_device_scalarIT4_EEPKS2_PKT1_PKT2_PT3_21rocsparse_index_base_b.has_indirect_call, 0
	.section	.AMDGPU.csdata,"",@progbits
; Kernel info:
; codeLenInByte = 424
; TotalNumSgprs: 22
; NumVgprs: 10
; ScratchSize: 0
; MemoryBound: 0
; FloatMode: 240
; IeeeMode: 1
; LDSByteSize: 0 bytes/workgroup (compile time only)
; SGPRBlocks: 0
; VGPRBlocks: 0
; NumSGPRsForWavesPerEU: 22
; NumVGPRsForWavesPerEU: 10
; NamedBarCnt: 0
; Occupancy: 16
; WaveLimiterHint : 1
; COMPUTE_PGM_RSRC2:SCRATCH_EN: 0
; COMPUTE_PGM_RSRC2:USER_SGPR: 2
; COMPUTE_PGM_RSRC2:TRAP_HANDLER: 0
; COMPUTE_PGM_RSRC2:TGID_X_EN: 1
; COMPUTE_PGM_RSRC2:TGID_Y_EN: 0
; COMPUTE_PGM_RSRC2:TGID_Z_EN: 0
; COMPUTE_PGM_RSRC2:TIDIG_COMP_CNT: 0
	.section	.text._ZN9rocsparseL13ellmvn_kernelILj512Ei21rocsparse_complex_numIfES1_IdES3_S3_EEvT0_S4_S4_NS_24const_host_device_scalarIT4_EEPKS4_PKT1_PKT2_S7_PT3_21rocsparse_index_base_b,"axG",@progbits,_ZN9rocsparseL13ellmvn_kernelILj512Ei21rocsparse_complex_numIfES1_IdES3_S3_EEvT0_S4_S4_NS_24const_host_device_scalarIT4_EEPKS4_PKT1_PKT2_S7_PT3_21rocsparse_index_base_b,comdat
	.globl	_ZN9rocsparseL13ellmvn_kernelILj512Ei21rocsparse_complex_numIfES1_IdES3_S3_EEvT0_S4_S4_NS_24const_host_device_scalarIT4_EEPKS4_PKT1_PKT2_S7_PT3_21rocsparse_index_base_b ; -- Begin function _ZN9rocsparseL13ellmvn_kernelILj512Ei21rocsparse_complex_numIfES1_IdES3_S3_EEvT0_S4_S4_NS_24const_host_device_scalarIT4_EEPKS4_PKT1_PKT2_S7_PT3_21rocsparse_index_base_b
	.p2align	8
	.type	_ZN9rocsparseL13ellmvn_kernelILj512Ei21rocsparse_complex_numIfES1_IdES3_S3_EEvT0_S4_S4_NS_24const_host_device_scalarIT4_EEPKS4_PKT1_PKT2_S7_PT3_21rocsparse_index_base_b,@function
_ZN9rocsparseL13ellmvn_kernelILj512Ei21rocsparse_complex_numIfES1_IdES3_S3_EEvT0_S4_S4_NS_24const_host_device_scalarIT4_EEPKS4_PKT1_PKT2_S7_PT3_21rocsparse_index_base_b: ; @_ZN9rocsparseL13ellmvn_kernelILj512Ei21rocsparse_complex_numIfES1_IdES3_S3_EEvT0_S4_S4_NS_24const_host_device_scalarIT4_EEPKS4_PKT1_PKT2_S7_PT3_21rocsparse_index_base_b
; %bb.0:
	s_clause 0x1
	s_load_b64 s[8:9], s[0:1], 0x50
	s_load_b64 s[2:3], s[0:1], 0x10
	v_mov_b32_e32 v1, 0
	s_add_nc_u64 s[4:5], s[0:1], 16
	s_load_b64 s[6:7], s[0:1], 0x38
	s_wait_kmcnt 0x0
	s_bitcmp1_b32 s9, 0
	s_cselect_b32 s3, s5, s3
	s_cselect_b32 s2, s4, s2
	flat_load_b128 v[2:5], v1, s[2:3]
	s_wait_xcnt 0x0
	s_add_nc_u64 s[2:3], s[0:1], 56
	s_delay_alu instid0(SALU_CYCLE_1)
	s_cselect_b32 s3, s3, s7
	s_cselect_b32 s2, s2, s6
	flat_load_b128 v[6:9], v1, s[2:3]
	s_wait_loadcnt_dscnt 0x101
	v_cmp_eq_f64_e32 vcc_lo, 0, v[2:3]
	s_wait_xcnt 0x0
	v_cmp_eq_f64_e64 s2, 0, v[4:5]
	s_and_b32 s4, vcc_lo, s2
	s_mov_b32 s2, -1
	s_and_saveexec_b32 s3, s4
	s_cbranch_execz .LBB44_2
; %bb.1:
	s_wait_loadcnt_dscnt 0x0
	v_cmp_neq_f64_e32 vcc_lo, 1.0, v[6:7]
	v_cmp_neq_f64_e64 s2, 0, v[8:9]
	s_or_b32 s2, vcc_lo, s2
	s_delay_alu instid0(SALU_CYCLE_1)
	s_or_not1_b32 s2, s2, exec_lo
.LBB44_2:
	s_or_b32 exec_lo, exec_lo, s3
	s_and_saveexec_b32 s3, s2
	s_cbranch_execz .LBB44_15
; %bb.3:
	s_load_b96 s[4:6], s[0:1], 0x0
	s_bfe_u32 s2, ttmp6, 0x4000c
	s_and_b32 s3, ttmp6, 15
	s_add_co_i32 s2, s2, 1
	s_getreg_b32 s7, hwreg(HW_REG_IB_STS2, 6, 4)
	s_mul_i32 s2, ttmp9, s2
	s_delay_alu instid0(SALU_CYCLE_1) | instskip(SKIP_2) | instid1(SALU_CYCLE_1)
	s_add_co_i32 s3, s3, s2
	s_cmp_eq_u32 s7, 0
	s_cselect_b32 s2, ttmp9, s3
	v_lshl_or_b32 v0, s2, 9, v0
	s_wait_kmcnt 0x0
	s_delay_alu instid0(VALU_DEP_1)
	v_cmp_gt_i32_e32 vcc_lo, s4, v0
	s_and_b32 exec_lo, exec_lo, vcc_lo
	s_cbranch_execz .LBB44_15
; %bb.4:
	s_load_b64 s[2:3], s[0:1], 0x48
	s_cmp_lt_i32 s6, 1
	s_cbranch_scc1 .LBB44_10
; %bb.5:
	s_clause 0x1
	s_load_b128 s[12:15], s[0:1], 0x20
	s_load_b64 s[10:11], s[0:1], 0x30
	v_ashrrev_i32_e32 v1, 31, v0
	v_mov_b64_e32 v[10:11], 0
	s_wait_xcnt 0x0
	s_ashr_i32 s1, s4, 31
	s_mov_b32 s0, s4
                                        ; implicit-def: $sgpr4
	s_wait_kmcnt 0x0
	v_lshl_add_u64 v[12:13], v[0:1], 3, s[14:15]
	v_lshl_add_u64 v[16:17], v[0:1], 2, s[12:13]
	s_lshl_b64 s[12:13], s[0:1], 2
	s_lshl_b64 s[14:15], s[0:1], 3
	s_mov_b32 s1, 0
	v_add_nc_u64_e32 v[14:15], 4, v[12:13]
	v_mov_b64_e32 v[12:13], 0
	s_branch .LBB44_7
.LBB44_6:                               ;   in Loop: Header=BB44_7 Depth=1
	s_or_b32 exec_lo, exec_lo, s0
	s_delay_alu instid0(SALU_CYCLE_1) | instskip(NEXT) | instid1(SALU_CYCLE_1)
	s_and_b32 s0, exec_lo, s4
	s_or_b32 s1, s0, s1
	s_delay_alu instid0(SALU_CYCLE_1)
	s_and_not1_b32 exec_lo, exec_lo, s1
	s_cbranch_execz .LBB44_9
.LBB44_7:                               ; =>This Inner Loop Header: Depth=1
	global_load_b32 v1, v[16:17], off th:TH_LOAD_NT
	s_or_b32 s4, s4, exec_lo
	s_wait_loadcnt 0x0
	v_subrev_nc_u32_e32 v1, s8, v1
	s_delay_alu instid0(VALU_DEP_1) | instskip(SKIP_2) | instid1(SALU_CYCLE_1)
	v_cmp_lt_i32_e32 vcc_lo, -1, v1
	v_cmp_gt_i32_e64 s0, s5, v1
	s_and_b32 s7, vcc_lo, s0
	s_and_saveexec_b32 s0, s7
	s_cbranch_execz .LBB44_6
; %bb.8:                                ;   in Loop: Header=BB44_7 Depth=1
	global_load_b64 v[22:23], v[14:15], off offset:-4 th:TH_LOAD_NT
	global_load_b128 v[18:21], v1, s[10:11] scale_offset
	s_add_co_i32 s6, s6, -1
	v_add_nc_u64_e32 v[16:17], s[12:13], v[16:17]
	s_cmp_eq_u32 s6, 0
	s_wait_xcnt 0x1
	v_add_nc_u64_e32 v[14:15], s[14:15], v[14:15]
	s_cselect_b32 s7, -1, 0
	s_and_not1_b32 s4, s4, exec_lo
	s_and_b32 s7, s7, exec_lo
	s_delay_alu instid0(SALU_CYCLE_1) | instskip(SKIP_4) | instid1(VALU_DEP_2)
	s_or_b32 s4, s4, s7
	s_wait_loadcnt 0x1
	v_cvt_f64_f32_e32 v[24:25], v22
	v_cvt_f64_f32_e32 v[22:23], v23
	s_wait_loadcnt 0x0
	v_fmac_f64_e32 v[12:13], v[24:25], v[18:19]
	s_delay_alu instid0(VALU_DEP_2) | instskip(NEXT) | instid1(VALU_DEP_2)
	v_fmac_f64_e32 v[10:11], v[22:23], v[18:19]
	v_fma_f64 v[12:13], -v[22:23], v[20:21], v[12:13]
	s_delay_alu instid0(VALU_DEP_2)
	v_fmac_f64_e32 v[10:11], v[24:25], v[20:21]
	s_branch .LBB44_6
.LBB44_9:
	s_or_b32 exec_lo, exec_lo, s1
	s_branch .LBB44_11
.LBB44_10:
	v_mov_b64_e32 v[10:11], 0
	v_mov_b64_e32 v[12:13], 0
.LBB44_11:
	s_wait_loadcnt_dscnt 0x0
	v_cmp_eq_f64_e32 vcc_lo, 0, v[6:7]
	s_wait_xcnt 0x0
	v_cmp_eq_f64_e64 s0, 0, v[8:9]
	s_and_b32 s0, vcc_lo, s0
	s_delay_alu instid0(SALU_CYCLE_1) | instskip(NEXT) | instid1(SALU_CYCLE_1)
	s_and_saveexec_b32 s1, s0
	s_xor_b32 s0, exec_lo, s1
	s_cbranch_execz .LBB44_13
; %bb.12:
	v_mul_f64_e64 v[6:7], v[10:11], -v[4:5]
	v_mul_f64_e32 v[8:9], v[2:3], v[10:11]
                                        ; implicit-def: $vgpr10_vgpr11
	s_delay_alu instid0(VALU_DEP_2) | instskip(NEXT) | instid1(VALU_DEP_2)
	v_fmac_f64_e32 v[6:7], v[2:3], v[12:13]
	v_fmac_f64_e32 v[8:9], v[4:5], v[12:13]
                                        ; implicit-def: $vgpr4_vgpr5
                                        ; implicit-def: $vgpr12_vgpr13
	s_wait_kmcnt 0x0
	global_store_b128 v0, v[6:9], s[2:3] scale_offset th:TH_STORE_NT
                                        ; implicit-def: $vgpr0
                                        ; implicit-def: $vgpr6_vgpr7
.LBB44_13:
	s_wait_xcnt 0x0
	s_and_not1_saveexec_b32 s0, s0
	s_cbranch_execz .LBB44_15
; %bb.14:
	s_wait_kmcnt 0x0
	global_load_b128 v[14:17], v0, s[2:3] scale_offset th:TH_LOAD_NT
	v_mul_f64_e64 v[18:19], v[10:11], -v[4:5]
	v_mul_f64_e32 v[10:11], v[2:3], v[10:11]
	s_delay_alu instid0(VALU_DEP_2) | instskip(NEXT) | instid1(VALU_DEP_2)
	v_fmac_f64_e32 v[18:19], v[2:3], v[12:13]
	v_fmac_f64_e32 v[10:11], v[4:5], v[12:13]
	s_wait_loadcnt 0x0
	s_delay_alu instid0(VALU_DEP_2) | instskip(NEXT) | instid1(VALU_DEP_2)
	v_fmac_f64_e32 v[18:19], v[6:7], v[14:15]
	v_fmac_f64_e32 v[10:11], v[8:9], v[14:15]
	s_delay_alu instid0(VALU_DEP_2) | instskip(NEXT) | instid1(VALU_DEP_2)
	v_fma_f64 v[8:9], -v[8:9], v[16:17], v[18:19]
	v_fmac_f64_e32 v[10:11], v[6:7], v[16:17]
	global_store_b128 v0, v[8:11], s[2:3] scale_offset th:TH_STORE_NT
.LBB44_15:
	s_endpgm
	.section	.rodata,"a",@progbits
	.p2align	6, 0x0
	.amdhsa_kernel _ZN9rocsparseL13ellmvn_kernelILj512Ei21rocsparse_complex_numIfES1_IdES3_S3_EEvT0_S4_S4_NS_24const_host_device_scalarIT4_EEPKS4_PKT1_PKT2_S7_PT3_21rocsparse_index_base_b
		.amdhsa_group_segment_fixed_size 0
		.amdhsa_private_segment_fixed_size 0
		.amdhsa_kernarg_size 88
		.amdhsa_user_sgpr_count 2
		.amdhsa_user_sgpr_dispatch_ptr 0
		.amdhsa_user_sgpr_queue_ptr 0
		.amdhsa_user_sgpr_kernarg_segment_ptr 1
		.amdhsa_user_sgpr_dispatch_id 0
		.amdhsa_user_sgpr_kernarg_preload_length 0
		.amdhsa_user_sgpr_kernarg_preload_offset 0
		.amdhsa_user_sgpr_private_segment_size 0
		.amdhsa_wavefront_size32 1
		.amdhsa_uses_dynamic_stack 0
		.amdhsa_enable_private_segment 0
		.amdhsa_system_sgpr_workgroup_id_x 1
		.amdhsa_system_sgpr_workgroup_id_y 0
		.amdhsa_system_sgpr_workgroup_id_z 0
		.amdhsa_system_sgpr_workgroup_info 0
		.amdhsa_system_vgpr_workitem_id 0
		.amdhsa_next_free_vgpr 26
		.amdhsa_next_free_sgpr 16
		.amdhsa_named_barrier_count 0
		.amdhsa_reserve_vcc 1
		.amdhsa_float_round_mode_32 0
		.amdhsa_float_round_mode_16_64 0
		.amdhsa_float_denorm_mode_32 3
		.amdhsa_float_denorm_mode_16_64 3
		.amdhsa_fp16_overflow 0
		.amdhsa_memory_ordered 1
		.amdhsa_forward_progress 1
		.amdhsa_inst_pref_size 6
		.amdhsa_round_robin_scheduling 0
		.amdhsa_exception_fp_ieee_invalid_op 0
		.amdhsa_exception_fp_denorm_src 0
		.amdhsa_exception_fp_ieee_div_zero 0
		.amdhsa_exception_fp_ieee_overflow 0
		.amdhsa_exception_fp_ieee_underflow 0
		.amdhsa_exception_fp_ieee_inexact 0
		.amdhsa_exception_int_div_zero 0
	.end_amdhsa_kernel
	.section	.text._ZN9rocsparseL13ellmvn_kernelILj512Ei21rocsparse_complex_numIfES1_IdES3_S3_EEvT0_S4_S4_NS_24const_host_device_scalarIT4_EEPKS4_PKT1_PKT2_S7_PT3_21rocsparse_index_base_b,"axG",@progbits,_ZN9rocsparseL13ellmvn_kernelILj512Ei21rocsparse_complex_numIfES1_IdES3_S3_EEvT0_S4_S4_NS_24const_host_device_scalarIT4_EEPKS4_PKT1_PKT2_S7_PT3_21rocsparse_index_base_b,comdat
.Lfunc_end44:
	.size	_ZN9rocsparseL13ellmvn_kernelILj512Ei21rocsparse_complex_numIfES1_IdES3_S3_EEvT0_S4_S4_NS_24const_host_device_scalarIT4_EEPKS4_PKT1_PKT2_S7_PT3_21rocsparse_index_base_b, .Lfunc_end44-_ZN9rocsparseL13ellmvn_kernelILj512Ei21rocsparse_complex_numIfES1_IdES3_S3_EEvT0_S4_S4_NS_24const_host_device_scalarIT4_EEPKS4_PKT1_PKT2_S7_PT3_21rocsparse_index_base_b
                                        ; -- End function
	.set _ZN9rocsparseL13ellmvn_kernelILj512Ei21rocsparse_complex_numIfES1_IdES3_S3_EEvT0_S4_S4_NS_24const_host_device_scalarIT4_EEPKS4_PKT1_PKT2_S7_PT3_21rocsparse_index_base_b.num_vgpr, 26
	.set _ZN9rocsparseL13ellmvn_kernelILj512Ei21rocsparse_complex_numIfES1_IdES3_S3_EEvT0_S4_S4_NS_24const_host_device_scalarIT4_EEPKS4_PKT1_PKT2_S7_PT3_21rocsparse_index_base_b.num_agpr, 0
	.set _ZN9rocsparseL13ellmvn_kernelILj512Ei21rocsparse_complex_numIfES1_IdES3_S3_EEvT0_S4_S4_NS_24const_host_device_scalarIT4_EEPKS4_PKT1_PKT2_S7_PT3_21rocsparse_index_base_b.numbered_sgpr, 16
	.set _ZN9rocsparseL13ellmvn_kernelILj512Ei21rocsparse_complex_numIfES1_IdES3_S3_EEvT0_S4_S4_NS_24const_host_device_scalarIT4_EEPKS4_PKT1_PKT2_S7_PT3_21rocsparse_index_base_b.num_named_barrier, 0
	.set _ZN9rocsparseL13ellmvn_kernelILj512Ei21rocsparse_complex_numIfES1_IdES3_S3_EEvT0_S4_S4_NS_24const_host_device_scalarIT4_EEPKS4_PKT1_PKT2_S7_PT3_21rocsparse_index_base_b.private_seg_size, 0
	.set _ZN9rocsparseL13ellmvn_kernelILj512Ei21rocsparse_complex_numIfES1_IdES3_S3_EEvT0_S4_S4_NS_24const_host_device_scalarIT4_EEPKS4_PKT1_PKT2_S7_PT3_21rocsparse_index_base_b.uses_vcc, 1
	.set _ZN9rocsparseL13ellmvn_kernelILj512Ei21rocsparse_complex_numIfES1_IdES3_S3_EEvT0_S4_S4_NS_24const_host_device_scalarIT4_EEPKS4_PKT1_PKT2_S7_PT3_21rocsparse_index_base_b.uses_flat_scratch, 0
	.set _ZN9rocsparseL13ellmvn_kernelILj512Ei21rocsparse_complex_numIfES1_IdES3_S3_EEvT0_S4_S4_NS_24const_host_device_scalarIT4_EEPKS4_PKT1_PKT2_S7_PT3_21rocsparse_index_base_b.has_dyn_sized_stack, 0
	.set _ZN9rocsparseL13ellmvn_kernelILj512Ei21rocsparse_complex_numIfES1_IdES3_S3_EEvT0_S4_S4_NS_24const_host_device_scalarIT4_EEPKS4_PKT1_PKT2_S7_PT3_21rocsparse_index_base_b.has_recursion, 0
	.set _ZN9rocsparseL13ellmvn_kernelILj512Ei21rocsparse_complex_numIfES1_IdES3_S3_EEvT0_S4_S4_NS_24const_host_device_scalarIT4_EEPKS4_PKT1_PKT2_S7_PT3_21rocsparse_index_base_b.has_indirect_call, 0
	.section	.AMDGPU.csdata,"",@progbits
; Kernel info:
; codeLenInByte = 736
; TotalNumSgprs: 18
; NumVgprs: 26
; ScratchSize: 0
; MemoryBound: 0
; FloatMode: 240
; IeeeMode: 1
; LDSByteSize: 0 bytes/workgroup (compile time only)
; SGPRBlocks: 0
; VGPRBlocks: 1
; NumSGPRsForWavesPerEU: 18
; NumVGPRsForWavesPerEU: 26
; NamedBarCnt: 0
; Occupancy: 16
; WaveLimiterHint : 1
; COMPUTE_PGM_RSRC2:SCRATCH_EN: 0
; COMPUTE_PGM_RSRC2:USER_SGPR: 2
; COMPUTE_PGM_RSRC2:TRAP_HANDLER: 0
; COMPUTE_PGM_RSRC2:TGID_X_EN: 1
; COMPUTE_PGM_RSRC2:TGID_Y_EN: 0
; COMPUTE_PGM_RSRC2:TGID_Z_EN: 0
; COMPUTE_PGM_RSRC2:TIDIG_COMP_CNT: 0
	.section	.text._ZN9rocsparseL13ellmvt_kernelILj1024Ei21rocsparse_complex_numIfES1_IdES3_S3_EEv20rocsparse_operation_T0_S5_S5_NS_24const_host_device_scalarIT4_EEPKS5_PKT1_PKT2_PT3_21rocsparse_index_base_b,"axG",@progbits,_ZN9rocsparseL13ellmvt_kernelILj1024Ei21rocsparse_complex_numIfES1_IdES3_S3_EEv20rocsparse_operation_T0_S5_S5_NS_24const_host_device_scalarIT4_EEPKS5_PKT1_PKT2_PT3_21rocsparse_index_base_b,comdat
	.globl	_ZN9rocsparseL13ellmvt_kernelILj1024Ei21rocsparse_complex_numIfES1_IdES3_S3_EEv20rocsparse_operation_T0_S5_S5_NS_24const_host_device_scalarIT4_EEPKS5_PKT1_PKT2_PT3_21rocsparse_index_base_b ; -- Begin function _ZN9rocsparseL13ellmvt_kernelILj1024Ei21rocsparse_complex_numIfES1_IdES3_S3_EEv20rocsparse_operation_T0_S5_S5_NS_24const_host_device_scalarIT4_EEPKS5_PKT1_PKT2_PT3_21rocsparse_index_base_b
	.p2align	8
	.type	_ZN9rocsparseL13ellmvt_kernelILj1024Ei21rocsparse_complex_numIfES1_IdES3_S3_EEv20rocsparse_operation_T0_S5_S5_NS_24const_host_device_scalarIT4_EEPKS5_PKT1_PKT2_PT3_21rocsparse_index_base_b,@function
_ZN9rocsparseL13ellmvt_kernelILj1024Ei21rocsparse_complex_numIfES1_IdES3_S3_EEv20rocsparse_operation_T0_S5_S5_NS_24const_host_device_scalarIT4_EEPKS5_PKT1_PKT2_PT3_21rocsparse_index_base_b: ; @_ZN9rocsparseL13ellmvt_kernelILj1024Ei21rocsparse_complex_numIfES1_IdES3_S3_EEv20rocsparse_operation_T0_S5_S5_NS_24const_host_device_scalarIT4_EEPKS5_PKT1_PKT2_PT3_21rocsparse_index_base_b
; %bb.0:
	s_clause 0x1
	s_load_b64 s[16:17], s[0:1], 0x40
	s_load_b64 s[2:3], s[0:1], 0x10
	v_mov_b32_e32 v1, 0
	s_add_nc_u64 s[4:5], s[0:1], 16
	s_wait_kmcnt 0x0
	s_bitcmp1_b32 s17, 0
	s_cselect_b32 s3, s5, s3
	s_cselect_b32 s2, s4, s2
	flat_load_b128 v[2:5], v1, s[2:3]
	s_wait_loadcnt_dscnt 0x0
	v_cmp_neq_f64_e32 vcc_lo, 0, v[2:3]
	v_cmp_neq_f64_e64 s2, 0, v[4:5]
	s_or_b32 s2, vcc_lo, s2
	s_delay_alu instid0(SALU_CYCLE_1)
	s_and_saveexec_b32 s3, s2
	s_cbranch_execz .LBB45_7
; %bb.1:
	s_load_b128 s[12:15], s[0:1], 0x0
	s_bfe_u32 s2, ttmp6, 0x4000c
	s_and_b32 s3, ttmp6, 15
	s_add_co_i32 s2, s2, 1
	s_getreg_b32 s4, hwreg(HW_REG_IB_STS2, 6, 4)
	s_mul_i32 s2, ttmp9, s2
	s_delay_alu instid0(SALU_CYCLE_1) | instskip(SKIP_2) | instid1(SALU_CYCLE_1)
	s_add_co_i32 s3, s3, s2
	s_cmp_eq_u32 s4, 0
	s_cselect_b32 s2, ttmp9, s3
	v_lshl_or_b32 v8, s2, 10, v0
	s_wait_kmcnt 0x0
	s_delay_alu instid0(VALU_DEP_1)
	v_cmp_gt_i32_e32 vcc_lo, s13, v8
	s_and_b32 exec_lo, exec_lo, vcc_lo
	s_cbranch_execz .LBB45_7
; %bb.2:
	s_cmp_lt_i32 s15, 1
	s_cbranch_scc1 .LBB45_7
; %bb.3:
	s_load_b256 s[4:11], s[0:1], 0x20
	v_ashrrev_i32_e32 v9, 31, v8
	s_wait_kmcnt 0x0
	global_load_b128 v[10:13], v8, s[8:9] scale_offset
	s_wait_loadcnt 0x0
	v_mul_f64_e64 v[0:1], v[12:13], -v[4:5]
	v_mul_f64_e32 v[6:7], v[2:3], v[12:13]
	s_delay_alu instid0(VALU_DEP_2) | instskip(NEXT) | instid1(VALU_DEP_2)
	v_fmac_f64_e32 v[0:1], v[2:3], v[10:11]
	v_fmac_f64_e32 v[6:7], v[4:5], v[10:11]
	v_lshl_add_u64 v[2:3], v[8:9], 3, s[6:7]
	s_ashr_i32 s7, s13, 31
	v_lshl_add_u64 v[4:5], v[8:9], 2, s[4:5]
	v_mov_b32_e32 v9, 0
	s_cmp_eq_u32 s12, 0x71
	v_add_nc_u64_e32 v[2:3], 4, v[2:3]
	s_mov_b32 s6, s13
	s_cselect_b32 s1, -1, 0
	s_lshl_b64 s[2:3], s[6:7], 2
	s_lshl_b64 s[4:5], s[6:7], 3
	s_mov_b32 s6, 0
                                        ; implicit-def: $sgpr7
	s_branch .LBB45_5
.LBB45_4:                               ;   in Loop: Header=BB45_5 Depth=1
	s_wait_xcnt 0x0
	s_or_b32 exec_lo, exec_lo, s0
	s_delay_alu instid0(SALU_CYCLE_1) | instskip(NEXT) | instid1(SALU_CYCLE_1)
	s_and_b32 s0, exec_lo, s7
	s_or_b32 s6, s0, s6
	s_delay_alu instid0(SALU_CYCLE_1)
	s_and_not1_b32 exec_lo, exec_lo, s6
	s_cbranch_execz .LBB45_7
.LBB45_5:                               ; =>This Inner Loop Header: Depth=1
	global_load_b32 v8, v[4:5], off th:TH_LOAD_NT
	s_or_b32 s7, s7, exec_lo
	s_wait_loadcnt 0x0
	v_subrev_nc_u32_e32 v8, s16, v8
	s_delay_alu instid0(VALU_DEP_1)
	v_cmp_lt_i32_e32 vcc_lo, -1, v8
	v_cmp_gt_i32_e64 s0, s14, v8
	s_and_b32 s8, vcc_lo, s0
	s_wait_xcnt 0x0
	s_and_saveexec_b32 s0, s8
	s_cbranch_execz .LBB45_4
; %bb.6:                                ;   in Loop: Header=BB45_5 Depth=1
	global_load_b64 v[10:11], v[2:3], off offset:-4 th:TH_LOAD_NT
	s_add_co_i32 s15, s15, -1
	v_add_nc_u64_e32 v[4:5], s[2:3], v[4:5]
	s_cmp_eq_u32 s15, 0
	s_wait_xcnt 0x0
	v_add_nc_u64_e32 v[2:3], s[4:5], v[2:3]
	s_cselect_b32 s8, -1, 0
	s_and_not1_b32 s7, s7, exec_lo
	s_and_b32 s8, s8, exec_lo
	s_delay_alu instid0(SALU_CYCLE_1) | instskip(SKIP_2) | instid1(VALU_DEP_1)
	s_or_b32 s7, s7, s8
	s_wait_loadcnt 0x0
	v_cndmask_b32_e64 v11, v11, -v11, s1
	v_cvt_f64_f32_e32 v[12:13], v11
	v_cvt_f64_f32_e32 v[10:11], v10
	s_delay_alu instid0(VALU_DEP_2) | instskip(SKIP_1) | instid1(VALU_DEP_2)
	v_mul_f64_e64 v[14:15], -v[6:7], v[12:13]
	v_mul_f64_e32 v[12:13], v[0:1], v[12:13]
	v_fmac_f64_e32 v[14:15], v[0:1], v[10:11]
	s_delay_alu instid0(VALU_DEP_2)
	v_fmac_f64_e32 v[12:13], v[6:7], v[10:11]
	v_lshl_add_u64 v[10:11], v[8:9], 4, s[10:11]
	global_atomic_add_f64 v[10:11], v[14:15], off scope:SCOPE_DEV
	s_wait_xcnt 0x0
	global_atomic_add_f64 v[10:11], v[12:13], off offset:8 scope:SCOPE_DEV
	s_branch .LBB45_4
.LBB45_7:
	s_endpgm
	.section	.rodata,"a",@progbits
	.p2align	6, 0x0
	.amdhsa_kernel _ZN9rocsparseL13ellmvt_kernelILj1024Ei21rocsparse_complex_numIfES1_IdES3_S3_EEv20rocsparse_operation_T0_S5_S5_NS_24const_host_device_scalarIT4_EEPKS5_PKT1_PKT2_PT3_21rocsparse_index_base_b
		.amdhsa_group_segment_fixed_size 0
		.amdhsa_private_segment_fixed_size 0
		.amdhsa_kernarg_size 72
		.amdhsa_user_sgpr_count 2
		.amdhsa_user_sgpr_dispatch_ptr 0
		.amdhsa_user_sgpr_queue_ptr 0
		.amdhsa_user_sgpr_kernarg_segment_ptr 1
		.amdhsa_user_sgpr_dispatch_id 0
		.amdhsa_user_sgpr_kernarg_preload_length 0
		.amdhsa_user_sgpr_kernarg_preload_offset 0
		.amdhsa_user_sgpr_private_segment_size 0
		.amdhsa_wavefront_size32 1
		.amdhsa_uses_dynamic_stack 0
		.amdhsa_enable_private_segment 0
		.amdhsa_system_sgpr_workgroup_id_x 1
		.amdhsa_system_sgpr_workgroup_id_y 0
		.amdhsa_system_sgpr_workgroup_id_z 0
		.amdhsa_system_sgpr_workgroup_info 0
		.amdhsa_system_vgpr_workitem_id 0
		.amdhsa_next_free_vgpr 16
		.amdhsa_next_free_sgpr 18
		.amdhsa_named_barrier_count 0
		.amdhsa_reserve_vcc 1
		.amdhsa_float_round_mode_32 0
		.amdhsa_float_round_mode_16_64 0
		.amdhsa_float_denorm_mode_32 3
		.amdhsa_float_denorm_mode_16_64 3
		.amdhsa_fp16_overflow 0
		.amdhsa_memory_ordered 1
		.amdhsa_forward_progress 1
		.amdhsa_inst_pref_size 5
		.amdhsa_round_robin_scheduling 0
		.amdhsa_exception_fp_ieee_invalid_op 0
		.amdhsa_exception_fp_denorm_src 0
		.amdhsa_exception_fp_ieee_div_zero 0
		.amdhsa_exception_fp_ieee_overflow 0
		.amdhsa_exception_fp_ieee_underflow 0
		.amdhsa_exception_fp_ieee_inexact 0
		.amdhsa_exception_int_div_zero 0
	.end_amdhsa_kernel
	.section	.text._ZN9rocsparseL13ellmvt_kernelILj1024Ei21rocsparse_complex_numIfES1_IdES3_S3_EEv20rocsparse_operation_T0_S5_S5_NS_24const_host_device_scalarIT4_EEPKS5_PKT1_PKT2_PT3_21rocsparse_index_base_b,"axG",@progbits,_ZN9rocsparseL13ellmvt_kernelILj1024Ei21rocsparse_complex_numIfES1_IdES3_S3_EEv20rocsparse_operation_T0_S5_S5_NS_24const_host_device_scalarIT4_EEPKS5_PKT1_PKT2_PT3_21rocsparse_index_base_b,comdat
.Lfunc_end45:
	.size	_ZN9rocsparseL13ellmvt_kernelILj1024Ei21rocsparse_complex_numIfES1_IdES3_S3_EEv20rocsparse_operation_T0_S5_S5_NS_24const_host_device_scalarIT4_EEPKS5_PKT1_PKT2_PT3_21rocsparse_index_base_b, .Lfunc_end45-_ZN9rocsparseL13ellmvt_kernelILj1024Ei21rocsparse_complex_numIfES1_IdES3_S3_EEv20rocsparse_operation_T0_S5_S5_NS_24const_host_device_scalarIT4_EEPKS5_PKT1_PKT2_PT3_21rocsparse_index_base_b
                                        ; -- End function
	.set _ZN9rocsparseL13ellmvt_kernelILj1024Ei21rocsparse_complex_numIfES1_IdES3_S3_EEv20rocsparse_operation_T0_S5_S5_NS_24const_host_device_scalarIT4_EEPKS5_PKT1_PKT2_PT3_21rocsparse_index_base_b.num_vgpr, 16
	.set _ZN9rocsparseL13ellmvt_kernelILj1024Ei21rocsparse_complex_numIfES1_IdES3_S3_EEv20rocsparse_operation_T0_S5_S5_NS_24const_host_device_scalarIT4_EEPKS5_PKT1_PKT2_PT3_21rocsparse_index_base_b.num_agpr, 0
	.set _ZN9rocsparseL13ellmvt_kernelILj1024Ei21rocsparse_complex_numIfES1_IdES3_S3_EEv20rocsparse_operation_T0_S5_S5_NS_24const_host_device_scalarIT4_EEPKS5_PKT1_PKT2_PT3_21rocsparse_index_base_b.numbered_sgpr, 18
	.set _ZN9rocsparseL13ellmvt_kernelILj1024Ei21rocsparse_complex_numIfES1_IdES3_S3_EEv20rocsparse_operation_T0_S5_S5_NS_24const_host_device_scalarIT4_EEPKS5_PKT1_PKT2_PT3_21rocsparse_index_base_b.num_named_barrier, 0
	.set _ZN9rocsparseL13ellmvt_kernelILj1024Ei21rocsparse_complex_numIfES1_IdES3_S3_EEv20rocsparse_operation_T0_S5_S5_NS_24const_host_device_scalarIT4_EEPKS5_PKT1_PKT2_PT3_21rocsparse_index_base_b.private_seg_size, 0
	.set _ZN9rocsparseL13ellmvt_kernelILj1024Ei21rocsparse_complex_numIfES1_IdES3_S3_EEv20rocsparse_operation_T0_S5_S5_NS_24const_host_device_scalarIT4_EEPKS5_PKT1_PKT2_PT3_21rocsparse_index_base_b.uses_vcc, 1
	.set _ZN9rocsparseL13ellmvt_kernelILj1024Ei21rocsparse_complex_numIfES1_IdES3_S3_EEv20rocsparse_operation_T0_S5_S5_NS_24const_host_device_scalarIT4_EEPKS5_PKT1_PKT2_PT3_21rocsparse_index_base_b.uses_flat_scratch, 0
	.set _ZN9rocsparseL13ellmvt_kernelILj1024Ei21rocsparse_complex_numIfES1_IdES3_S3_EEv20rocsparse_operation_T0_S5_S5_NS_24const_host_device_scalarIT4_EEPKS5_PKT1_PKT2_PT3_21rocsparse_index_base_b.has_dyn_sized_stack, 0
	.set _ZN9rocsparseL13ellmvt_kernelILj1024Ei21rocsparse_complex_numIfES1_IdES3_S3_EEv20rocsparse_operation_T0_S5_S5_NS_24const_host_device_scalarIT4_EEPKS5_PKT1_PKT2_PT3_21rocsparse_index_base_b.has_recursion, 0
	.set _ZN9rocsparseL13ellmvt_kernelILj1024Ei21rocsparse_complex_numIfES1_IdES3_S3_EEv20rocsparse_operation_T0_S5_S5_NS_24const_host_device_scalarIT4_EEPKS5_PKT1_PKT2_PT3_21rocsparse_index_base_b.has_indirect_call, 0
	.section	.AMDGPU.csdata,"",@progbits
; Kernel info:
; codeLenInByte = 520
; TotalNumSgprs: 20
; NumVgprs: 16
; ScratchSize: 0
; MemoryBound: 0
; FloatMode: 240
; IeeeMode: 1
; LDSByteSize: 0 bytes/workgroup (compile time only)
; SGPRBlocks: 0
; VGPRBlocks: 0
; NumSGPRsForWavesPerEU: 20
; NumVGPRsForWavesPerEU: 16
; NamedBarCnt: 0
; Occupancy: 16
; WaveLimiterHint : 1
; COMPUTE_PGM_RSRC2:SCRATCH_EN: 0
; COMPUTE_PGM_RSRC2:USER_SGPR: 2
; COMPUTE_PGM_RSRC2:TRAP_HANDLER: 0
; COMPUTE_PGM_RSRC2:TGID_X_EN: 1
; COMPUTE_PGM_RSRC2:TGID_Y_EN: 0
; COMPUTE_PGM_RSRC2:TGID_Z_EN: 0
; COMPUTE_PGM_RSRC2:TIDIG_COMP_CNT: 0
	.section	.text._ZN9rocsparseL13ellmvn_kernelILj512El21rocsparse_complex_numIfES1_IdES3_S3_EEvT0_S4_S4_NS_24const_host_device_scalarIT4_EEPKS4_PKT1_PKT2_S7_PT3_21rocsparse_index_base_b,"axG",@progbits,_ZN9rocsparseL13ellmvn_kernelILj512El21rocsparse_complex_numIfES1_IdES3_S3_EEvT0_S4_S4_NS_24const_host_device_scalarIT4_EEPKS4_PKT1_PKT2_S7_PT3_21rocsparse_index_base_b,comdat
	.globl	_ZN9rocsparseL13ellmvn_kernelILj512El21rocsparse_complex_numIfES1_IdES3_S3_EEvT0_S4_S4_NS_24const_host_device_scalarIT4_EEPKS4_PKT1_PKT2_S7_PT3_21rocsparse_index_base_b ; -- Begin function _ZN9rocsparseL13ellmvn_kernelILj512El21rocsparse_complex_numIfES1_IdES3_S3_EEvT0_S4_S4_NS_24const_host_device_scalarIT4_EEPKS4_PKT1_PKT2_S7_PT3_21rocsparse_index_base_b
	.p2align	8
	.type	_ZN9rocsparseL13ellmvn_kernelILj512El21rocsparse_complex_numIfES1_IdES3_S3_EEvT0_S4_S4_NS_24const_host_device_scalarIT4_EEPKS4_PKT1_PKT2_S7_PT3_21rocsparse_index_base_b,@function
_ZN9rocsparseL13ellmvn_kernelILj512El21rocsparse_complex_numIfES1_IdES3_S3_EEvT0_S4_S4_NS_24const_host_device_scalarIT4_EEPKS4_PKT1_PKT2_S7_PT3_21rocsparse_index_base_b: ; @_ZN9rocsparseL13ellmvn_kernelILj512El21rocsparse_complex_numIfES1_IdES3_S3_EEvT0_S4_S4_NS_24const_host_device_scalarIT4_EEPKS4_PKT1_PKT2_S7_PT3_21rocsparse_index_base_b
; %bb.0:
	s_clause 0x1
	s_load_b64 s[16:17], s[0:1], 0x58
	s_load_b256 s[4:11], s[0:1], 0x0
	v_mov_b32_e32 v1, 0
	s_add_nc_u64 s[2:3], s[0:1], 24
	s_load_b64 s[12:13], s[0:1], 0x40
	s_wait_kmcnt 0x0
	s_bitcmp1_b32 s17, 0
	s_cselect_b32 s3, s3, s11
	s_cselect_b32 s2, s2, s10
	flat_load_b128 v[2:5], v1, s[2:3]
	s_wait_xcnt 0x0
	s_add_nc_u64 s[2:3], s[0:1], 64
	s_delay_alu instid0(SALU_CYCLE_1)
	s_cselect_b32 s3, s3, s13
	s_cselect_b32 s2, s2, s12
	flat_load_b128 v[6:9], v1, s[2:3]
	s_wait_loadcnt_dscnt 0x101
	v_cmp_eq_f64_e32 vcc_lo, 0, v[2:3]
	s_wait_xcnt 0x0
	v_cmp_eq_f64_e64 s2, 0, v[4:5]
	s_and_b32 s10, vcc_lo, s2
	s_mov_b32 s2, -1
	s_and_saveexec_b32 s3, s10
	s_cbranch_execz .LBB46_2
; %bb.1:
	s_wait_loadcnt_dscnt 0x0
	v_cmp_neq_f64_e32 vcc_lo, 1.0, v[6:7]
	v_cmp_neq_f64_e64 s2, 0, v[8:9]
	s_or_b32 s2, vcc_lo, s2
	s_delay_alu instid0(SALU_CYCLE_1)
	s_or_not1_b32 s2, s2, exec_lo
.LBB46_2:
	s_or_b32 exec_lo, exec_lo, s3
	s_and_saveexec_b32 s3, s2
	s_cbranch_execz .LBB46_15
; %bb.3:
	s_bfe_u32 s2, ttmp6, 0x4000c
	s_and_b32 s3, ttmp6, 15
	s_add_co_i32 s2, s2, 1
	s_getreg_b32 s10, hwreg(HW_REG_IB_STS2, 6, 4)
	s_mul_i32 s2, ttmp9, s2
	v_mov_b32_e32 v1, 0
	s_add_co_i32 s3, s3, s2
	s_cmp_eq_u32 s10, 0
	s_cselect_b32 s2, ttmp9, s3
	s_delay_alu instid0(SALU_CYCLE_1) | instskip(NEXT) | instid1(VALU_DEP_1)
	v_lshl_or_b32 v0, s2, 9, v0
	v_cmp_gt_i64_e32 vcc_lo, s[4:5], v[0:1]
	s_and_b32 exec_lo, exec_lo, vcc_lo
	s_cbranch_execz .LBB46_15
; %bb.4:
	v_cmp_lt_i64_e64 s2, s[8:9], 1
	s_and_b32 vcc_lo, exec_lo, s2
	s_cbranch_vccnz .LBB46_10
; %bb.5:
	s_clause 0x1
	s_load_b128 s[12:15], s[0:1], 0x28
	s_load_b64 s[10:11], s[0:1], 0x38
	v_lshlrev_b64_e32 v[14:15], 3, v[0:1]
	v_mov_b64_e32 v[10:11], 0
	v_mov_b64_e32 v[12:13], 0
	s_mov_b32 s17, 0
	s_lshl_b64 s[4:5], s[4:5], 3
	s_mov_b32 s3, s17
                                        ; implicit-def: $sgpr18
	s_branch .LBB46_7
.LBB46_6:                               ;   in Loop: Header=BB46_7 Depth=1
	s_or_b32 exec_lo, exec_lo, s2
	s_delay_alu instid0(SALU_CYCLE_1) | instskip(NEXT) | instid1(SALU_CYCLE_1)
	s_and_b32 s2, exec_lo, s18
	s_or_b32 s3, s2, s3
	s_delay_alu instid0(SALU_CYCLE_1)
	s_and_not1_b32 exec_lo, exec_lo, s3
	s_cbranch_execz .LBB46_9
.LBB46_7:                               ; =>This Inner Loop Header: Depth=1
	s_wait_kmcnt 0x0
	v_add_nc_u64_e32 v[16:17], s[12:13], v[14:15]
	s_or_b32 s18, s18, exec_lo
	global_load_b64 v[16:17], v[16:17], off th:TH_LOAD_NT
	s_wait_loadcnt 0x0
	v_sub_nc_u64_e64 v[16:17], v[16:17], s[16:17]
	s_delay_alu instid0(VALU_DEP_1) | instskip(SKIP_2) | instid1(SALU_CYCLE_1)
	v_cmp_lt_i64_e32 vcc_lo, -1, v[16:17]
	v_cmp_gt_i64_e64 s2, s[6:7], v[16:17]
	s_and_b32 s19, vcc_lo, s2
	s_and_saveexec_b32 s2, s19
	s_cbranch_execz .LBB46_6
; %bb.8:                                ;   in Loop: Header=BB46_7 Depth=1
	v_add_nc_u64_e32 v[18:19], s[14:15], v[14:15]
	v_lshl_add_u64 v[16:17], v[16:17], 4, s[10:11]
	s_add_nc_u64 s[8:9], s[8:9], -1
	v_add_nc_u64_e32 v[14:15], s[4:5], v[14:15]
	s_cmp_eq_u64 s[8:9], 0
	s_cselect_b32 s19, -1, 0
	global_load_b64 v[20:21], v[18:19], off th:TH_LOAD_NT
	global_load_b128 v[16:19], v[16:17], off
	s_and_not1_b32 s18, s18, exec_lo
	s_and_b32 s19, s19, exec_lo
	s_delay_alu instid0(SALU_CYCLE_1) | instskip(SKIP_4) | instid1(VALU_DEP_2)
	s_or_b32 s18, s18, s19
	s_wait_loadcnt 0x1
	v_cvt_f64_f32_e32 v[22:23], v20
	v_cvt_f64_f32_e32 v[20:21], v21
	s_wait_loadcnt 0x0
	v_fmac_f64_e32 v[12:13], v[22:23], v[16:17]
	s_delay_alu instid0(VALU_DEP_2) | instskip(NEXT) | instid1(VALU_DEP_2)
	v_fmac_f64_e32 v[10:11], v[20:21], v[16:17]
	v_fma_f64 v[12:13], -v[20:21], v[18:19], v[12:13]
	s_delay_alu instid0(VALU_DEP_2)
	v_fmac_f64_e32 v[10:11], v[22:23], v[18:19]
	s_branch .LBB46_6
.LBB46_9:
	s_or_b32 exec_lo, exec_lo, s3
	s_branch .LBB46_11
.LBB46_10:
	v_mov_b64_e32 v[10:11], 0
	v_mov_b64_e32 v[12:13], 0
.LBB46_11:
	s_load_b64 s[2:3], s[0:1], 0x50
	s_wait_loadcnt_dscnt 0x0
	v_cmp_eq_f64_e32 vcc_lo, 0, v[6:7]
	s_wait_xcnt 0x0
	v_cmp_eq_f64_e64 s0, 0, v[8:9]
	s_and_b32 s0, vcc_lo, s0
	s_delay_alu instid0(SALU_CYCLE_1) | instskip(NEXT) | instid1(SALU_CYCLE_1)
	s_and_saveexec_b32 s1, s0
	s_xor_b32 s0, exec_lo, s1
	s_cbranch_execz .LBB46_13
; %bb.12:
	v_mul_f64_e64 v[6:7], v[10:11], -v[4:5]
	v_mul_f64_e32 v[8:9], v[2:3], v[10:11]
	s_wait_kmcnt 0x0
	v_lshl_add_u64 v[0:1], v[0:1], 4, s[2:3]
                                        ; implicit-def: $vgpr10_vgpr11
	s_delay_alu instid0(VALU_DEP_3) | instskip(NEXT) | instid1(VALU_DEP_3)
	v_fmac_f64_e32 v[6:7], v[2:3], v[12:13]
	v_fmac_f64_e32 v[8:9], v[4:5], v[12:13]
                                        ; implicit-def: $vgpr4_vgpr5
                                        ; implicit-def: $vgpr12_vgpr13
	global_store_b128 v[0:1], v[6:9], off th:TH_STORE_NT
                                        ; implicit-def: $vgpr0_vgpr1
                                        ; implicit-def: $vgpr6_vgpr7
.LBB46_13:
	s_wait_xcnt 0x0
	s_and_not1_saveexec_b32 s0, s0
	s_cbranch_execz .LBB46_15
; %bb.14:
	s_wait_kmcnt 0x0
	v_lshl_add_u64 v[0:1], v[0:1], 4, s[2:3]
	v_mul_f64_e64 v[18:19], v[10:11], -v[4:5]
	v_mul_f64_e32 v[10:11], v[2:3], v[10:11]
	global_load_b128 v[14:17], v[0:1], off th:TH_LOAD_NT
	v_fmac_f64_e32 v[18:19], v[2:3], v[12:13]
	v_fmac_f64_e32 v[10:11], v[4:5], v[12:13]
	s_wait_loadcnt 0x0
	s_delay_alu instid0(VALU_DEP_2) | instskip(NEXT) | instid1(VALU_DEP_2)
	v_fmac_f64_e32 v[18:19], v[6:7], v[14:15]
	v_fmac_f64_e32 v[10:11], v[8:9], v[14:15]
	s_delay_alu instid0(VALU_DEP_2) | instskip(NEXT) | instid1(VALU_DEP_2)
	v_fma_f64 v[8:9], -v[8:9], v[16:17], v[18:19]
	v_fmac_f64_e32 v[10:11], v[6:7], v[16:17]
	global_store_b128 v[0:1], v[8:11], off th:TH_STORE_NT
.LBB46_15:
	s_endpgm
	.section	.rodata,"a",@progbits
	.p2align	6, 0x0
	.amdhsa_kernel _ZN9rocsparseL13ellmvn_kernelILj512El21rocsparse_complex_numIfES1_IdES3_S3_EEvT0_S4_S4_NS_24const_host_device_scalarIT4_EEPKS4_PKT1_PKT2_S7_PT3_21rocsparse_index_base_b
		.amdhsa_group_segment_fixed_size 0
		.amdhsa_private_segment_fixed_size 0
		.amdhsa_kernarg_size 96
		.amdhsa_user_sgpr_count 2
		.amdhsa_user_sgpr_dispatch_ptr 0
		.amdhsa_user_sgpr_queue_ptr 0
		.amdhsa_user_sgpr_kernarg_segment_ptr 1
		.amdhsa_user_sgpr_dispatch_id 0
		.amdhsa_user_sgpr_kernarg_preload_length 0
		.amdhsa_user_sgpr_kernarg_preload_offset 0
		.amdhsa_user_sgpr_private_segment_size 0
		.amdhsa_wavefront_size32 1
		.amdhsa_uses_dynamic_stack 0
		.amdhsa_enable_private_segment 0
		.amdhsa_system_sgpr_workgroup_id_x 1
		.amdhsa_system_sgpr_workgroup_id_y 0
		.amdhsa_system_sgpr_workgroup_id_z 0
		.amdhsa_system_sgpr_workgroup_info 0
		.amdhsa_system_vgpr_workitem_id 0
		.amdhsa_next_free_vgpr 24
		.amdhsa_next_free_sgpr 20
		.amdhsa_named_barrier_count 0
		.amdhsa_reserve_vcc 1
		.amdhsa_float_round_mode_32 0
		.amdhsa_float_round_mode_16_64 0
		.amdhsa_float_denorm_mode_32 3
		.amdhsa_float_denorm_mode_16_64 3
		.amdhsa_fp16_overflow 0
		.amdhsa_memory_ordered 1
		.amdhsa_forward_progress 1
		.amdhsa_inst_pref_size 6
		.amdhsa_round_robin_scheduling 0
		.amdhsa_exception_fp_ieee_invalid_op 0
		.amdhsa_exception_fp_denorm_src 0
		.amdhsa_exception_fp_ieee_div_zero 0
		.amdhsa_exception_fp_ieee_overflow 0
		.amdhsa_exception_fp_ieee_underflow 0
		.amdhsa_exception_fp_ieee_inexact 0
		.amdhsa_exception_int_div_zero 0
	.end_amdhsa_kernel
	.section	.text._ZN9rocsparseL13ellmvn_kernelILj512El21rocsparse_complex_numIfES1_IdES3_S3_EEvT0_S4_S4_NS_24const_host_device_scalarIT4_EEPKS4_PKT1_PKT2_S7_PT3_21rocsparse_index_base_b,"axG",@progbits,_ZN9rocsparseL13ellmvn_kernelILj512El21rocsparse_complex_numIfES1_IdES3_S3_EEvT0_S4_S4_NS_24const_host_device_scalarIT4_EEPKS4_PKT1_PKT2_S7_PT3_21rocsparse_index_base_b,comdat
.Lfunc_end46:
	.size	_ZN9rocsparseL13ellmvn_kernelILj512El21rocsparse_complex_numIfES1_IdES3_S3_EEvT0_S4_S4_NS_24const_host_device_scalarIT4_EEPKS4_PKT1_PKT2_S7_PT3_21rocsparse_index_base_b, .Lfunc_end46-_ZN9rocsparseL13ellmvn_kernelILj512El21rocsparse_complex_numIfES1_IdES3_S3_EEvT0_S4_S4_NS_24const_host_device_scalarIT4_EEPKS4_PKT1_PKT2_S7_PT3_21rocsparse_index_base_b
                                        ; -- End function
	.set _ZN9rocsparseL13ellmvn_kernelILj512El21rocsparse_complex_numIfES1_IdES3_S3_EEvT0_S4_S4_NS_24const_host_device_scalarIT4_EEPKS4_PKT1_PKT2_S7_PT3_21rocsparse_index_base_b.num_vgpr, 24
	.set _ZN9rocsparseL13ellmvn_kernelILj512El21rocsparse_complex_numIfES1_IdES3_S3_EEvT0_S4_S4_NS_24const_host_device_scalarIT4_EEPKS4_PKT1_PKT2_S7_PT3_21rocsparse_index_base_b.num_agpr, 0
	.set _ZN9rocsparseL13ellmvn_kernelILj512El21rocsparse_complex_numIfES1_IdES3_S3_EEvT0_S4_S4_NS_24const_host_device_scalarIT4_EEPKS4_PKT1_PKT2_S7_PT3_21rocsparse_index_base_b.numbered_sgpr, 20
	.set _ZN9rocsparseL13ellmvn_kernelILj512El21rocsparse_complex_numIfES1_IdES3_S3_EEvT0_S4_S4_NS_24const_host_device_scalarIT4_EEPKS4_PKT1_PKT2_S7_PT3_21rocsparse_index_base_b.num_named_barrier, 0
	.set _ZN9rocsparseL13ellmvn_kernelILj512El21rocsparse_complex_numIfES1_IdES3_S3_EEvT0_S4_S4_NS_24const_host_device_scalarIT4_EEPKS4_PKT1_PKT2_S7_PT3_21rocsparse_index_base_b.private_seg_size, 0
	.set _ZN9rocsparseL13ellmvn_kernelILj512El21rocsparse_complex_numIfES1_IdES3_S3_EEvT0_S4_S4_NS_24const_host_device_scalarIT4_EEPKS4_PKT1_PKT2_S7_PT3_21rocsparse_index_base_b.uses_vcc, 1
	.set _ZN9rocsparseL13ellmvn_kernelILj512El21rocsparse_complex_numIfES1_IdES3_S3_EEvT0_S4_S4_NS_24const_host_device_scalarIT4_EEPKS4_PKT1_PKT2_S7_PT3_21rocsparse_index_base_b.uses_flat_scratch, 0
	.set _ZN9rocsparseL13ellmvn_kernelILj512El21rocsparse_complex_numIfES1_IdES3_S3_EEvT0_S4_S4_NS_24const_host_device_scalarIT4_EEPKS4_PKT1_PKT2_S7_PT3_21rocsparse_index_base_b.has_dyn_sized_stack, 0
	.set _ZN9rocsparseL13ellmvn_kernelILj512El21rocsparse_complex_numIfES1_IdES3_S3_EEvT0_S4_S4_NS_24const_host_device_scalarIT4_EEPKS4_PKT1_PKT2_S7_PT3_21rocsparse_index_base_b.has_recursion, 0
	.set _ZN9rocsparseL13ellmvn_kernelILj512El21rocsparse_complex_numIfES1_IdES3_S3_EEvT0_S4_S4_NS_24const_host_device_scalarIT4_EEPKS4_PKT1_PKT2_S7_PT3_21rocsparse_index_base_b.has_indirect_call, 0
	.section	.AMDGPU.csdata,"",@progbits
; Kernel info:
; codeLenInByte = 724
; TotalNumSgprs: 22
; NumVgprs: 24
; ScratchSize: 0
; MemoryBound: 0
; FloatMode: 240
; IeeeMode: 1
; LDSByteSize: 0 bytes/workgroup (compile time only)
; SGPRBlocks: 0
; VGPRBlocks: 1
; NumSGPRsForWavesPerEU: 22
; NumVGPRsForWavesPerEU: 24
; NamedBarCnt: 0
; Occupancy: 16
; WaveLimiterHint : 1
; COMPUTE_PGM_RSRC2:SCRATCH_EN: 0
; COMPUTE_PGM_RSRC2:USER_SGPR: 2
; COMPUTE_PGM_RSRC2:TRAP_HANDLER: 0
; COMPUTE_PGM_RSRC2:TGID_X_EN: 1
; COMPUTE_PGM_RSRC2:TGID_Y_EN: 0
; COMPUTE_PGM_RSRC2:TGID_Z_EN: 0
; COMPUTE_PGM_RSRC2:TIDIG_COMP_CNT: 0
	.section	.text._ZN9rocsparseL13ellmvt_kernelILj1024El21rocsparse_complex_numIfES1_IdES3_S3_EEv20rocsparse_operation_T0_S5_S5_NS_24const_host_device_scalarIT4_EEPKS5_PKT1_PKT2_PT3_21rocsparse_index_base_b,"axG",@progbits,_ZN9rocsparseL13ellmvt_kernelILj1024El21rocsparse_complex_numIfES1_IdES3_S3_EEv20rocsparse_operation_T0_S5_S5_NS_24const_host_device_scalarIT4_EEPKS5_PKT1_PKT2_PT3_21rocsparse_index_base_b,comdat
	.globl	_ZN9rocsparseL13ellmvt_kernelILj1024El21rocsparse_complex_numIfES1_IdES3_S3_EEv20rocsparse_operation_T0_S5_S5_NS_24const_host_device_scalarIT4_EEPKS5_PKT1_PKT2_PT3_21rocsparse_index_base_b ; -- Begin function _ZN9rocsparseL13ellmvt_kernelILj1024El21rocsparse_complex_numIfES1_IdES3_S3_EEv20rocsparse_operation_T0_S5_S5_NS_24const_host_device_scalarIT4_EEPKS5_PKT1_PKT2_PT3_21rocsparse_index_base_b
	.p2align	8
	.type	_ZN9rocsparseL13ellmvt_kernelILj1024El21rocsparse_complex_numIfES1_IdES3_S3_EEv20rocsparse_operation_T0_S5_S5_NS_24const_host_device_scalarIT4_EEPKS5_PKT1_PKT2_PT3_21rocsparse_index_base_b,@function
_ZN9rocsparseL13ellmvt_kernelILj1024El21rocsparse_complex_numIfES1_IdES3_S3_EEv20rocsparse_operation_T0_S5_S5_NS_24const_host_device_scalarIT4_EEPKS5_PKT1_PKT2_PT3_21rocsparse_index_base_b: ; @_ZN9rocsparseL13ellmvt_kernelILj1024El21rocsparse_complex_numIfES1_IdES3_S3_EEv20rocsparse_operation_T0_S5_S5_NS_24const_host_device_scalarIT4_EEPKS5_PKT1_PKT2_PT3_21rocsparse_index_base_b
; %bb.0:
	s_clause 0x1
	s_load_b64 s[20:21], s[0:1], 0x50
	s_load_b256 s[4:11], s[0:1], 0x8
	v_mov_b32_e32 v9, 0
	s_add_nc_u64 s[2:3], s[0:1], 32
	s_wait_kmcnt 0x0
	s_bitcmp1_b32 s21, 0
	s_cselect_b32 s3, s3, s11
	s_cselect_b32 s2, s2, s10
	flat_load_b128 v[2:5], v9, s[2:3]
	s_wait_loadcnt_dscnt 0x0
	v_cmp_neq_f64_e32 vcc_lo, 0, v[2:3]
	v_cmp_neq_f64_e64 s2, 0, v[4:5]
	s_or_b32 s2, vcc_lo, s2
	s_delay_alu instid0(SALU_CYCLE_1)
	s_and_saveexec_b32 s3, s2
	s_cbranch_execz .LBB47_7
; %bb.1:
	s_bfe_u32 s2, ttmp6, 0x4000c
	s_and_b32 s3, ttmp6, 15
	s_add_co_i32 s2, s2, 1
	s_getreg_b32 s10, hwreg(HW_REG_IB_STS2, 6, 4)
	s_mul_i32 s2, ttmp9, s2
	s_delay_alu instid0(SALU_CYCLE_1) | instskip(SKIP_2) | instid1(SALU_CYCLE_1)
	s_add_co_i32 s3, s3, s2
	s_cmp_eq_u32 s10, 0
	s_cselect_b32 s2, ttmp9, s3
	v_lshl_or_b32 v8, s2, 10, v0
	s_delay_alu instid0(VALU_DEP_1)
	v_cmp_gt_i64_e32 vcc_lo, s[4:5], v[8:9]
	s_and_b32 exec_lo, exec_lo, vcc_lo
	s_cbranch_execz .LBB47_7
; %bb.2:
	v_cmp_lt_i64_e64 s2, s[8:9], 1
	s_and_b32 vcc_lo, exec_lo, s2
	s_cbranch_vccnz .LBB47_7
; %bb.3:
	s_load_b256 s[12:19], s[0:1], 0x30
	s_mov_b32 s21, 0
	s_wait_xcnt 0x0
	s_load_b32 s0, s[0:1], 0x0
	s_wait_kmcnt 0x0
	v_lshl_add_u64 v[0:1], v[8:9], 4, s[16:17]
	s_cmp_eq_u32 s0, 0x71
	s_cselect_b32 s1, -1, 0
	global_load_b128 v[10:13], v[0:1], off
	s_lshl_b64 s[2:3], s[4:5], 3
	s_mov_b32 s4, s21
                                        ; implicit-def: $sgpr5
	s_wait_loadcnt 0x0
	v_mul_f64_e64 v[0:1], v[12:13], -v[4:5]
	v_mul_f64_e32 v[6:7], v[2:3], v[12:13]
	s_delay_alu instid0(VALU_DEP_2) | instskip(NEXT) | instid1(VALU_DEP_2)
	v_fmac_f64_e32 v[0:1], v[2:3], v[10:11]
	v_fmac_f64_e32 v[6:7], v[4:5], v[10:11]
	v_lshlrev_b64_e32 v[2:3], 3, v[8:9]
	s_branch .LBB47_5
.LBB47_4:                               ;   in Loop: Header=BB47_5 Depth=1
	s_wait_xcnt 0x0
	s_or_b32 exec_lo, exec_lo, s0
	s_delay_alu instid0(SALU_CYCLE_1) | instskip(NEXT) | instid1(SALU_CYCLE_1)
	s_and_b32 s0, exec_lo, s5
	s_or_b32 s4, s0, s4
	s_delay_alu instid0(SALU_CYCLE_1)
	s_and_not1_b32 exec_lo, exec_lo, s4
	s_cbranch_execz .LBB47_7
.LBB47_5:                               ; =>This Inner Loop Header: Depth=1
	s_delay_alu instid0(VALU_DEP_1)
	v_add_nc_u64_e32 v[4:5], s[12:13], v[2:3]
	s_or_b32 s5, s5, exec_lo
	global_load_b64 v[4:5], v[4:5], off th:TH_LOAD_NT
	s_wait_loadcnt 0x0
	s_wait_xcnt 0x0
	v_sub_nc_u64_e64 v[4:5], v[4:5], s[20:21]
	s_delay_alu instid0(VALU_DEP_1) | instskip(SKIP_2) | instid1(SALU_CYCLE_1)
	v_cmp_lt_i64_e32 vcc_lo, -1, v[4:5]
	v_cmp_gt_i64_e64 s0, s[6:7], v[4:5]
	s_and_b32 s10, vcc_lo, s0
	s_and_saveexec_b32 s0, s10
	s_cbranch_execz .LBB47_4
; %bb.6:                                ;   in Loop: Header=BB47_5 Depth=1
	v_add_nc_u64_e32 v[8:9], s[14:15], v[2:3]
	v_lshl_add_u64 v[4:5], v[4:5], 4, s[18:19]
	s_add_nc_u64 s[8:9], s[8:9], -1
	v_add_nc_u64_e32 v[2:3], s[2:3], v[2:3]
	s_cmp_eq_u64 s[8:9], 0
	s_cselect_b32 s10, -1, 0
	global_load_b64 v[8:9], v[8:9], off th:TH_LOAD_NT
	s_and_not1_b32 s5, s5, exec_lo
	s_and_b32 s10, s10, exec_lo
	s_delay_alu instid0(SALU_CYCLE_1) | instskip(SKIP_3) | instid1(VALU_DEP_1)
	s_or_b32 s5, s5, s10
	s_wait_loadcnt 0x0
	s_wait_xcnt 0x0
	v_cndmask_b32_e64 v9, v9, -v9, s1
	v_cvt_f64_f32_e32 v[10:11], v9
	v_cvt_f64_f32_e32 v[8:9], v8
	s_delay_alu instid0(VALU_DEP_2) | instskip(SKIP_1) | instid1(VALU_DEP_2)
	v_mul_f64_e64 v[12:13], -v[6:7], v[10:11]
	v_mul_f64_e32 v[10:11], v[0:1], v[10:11]
	v_fmac_f64_e32 v[12:13], v[0:1], v[8:9]
	s_delay_alu instid0(VALU_DEP_2)
	v_fmac_f64_e32 v[10:11], v[6:7], v[8:9]
	global_atomic_add_f64 v[4:5], v[12:13], off scope:SCOPE_DEV
	s_wait_xcnt 0x0
	global_atomic_add_f64 v[4:5], v[10:11], off offset:8 scope:SCOPE_DEV
	s_branch .LBB47_4
.LBB47_7:
	s_endpgm
	.section	.rodata,"a",@progbits
	.p2align	6, 0x0
	.amdhsa_kernel _ZN9rocsparseL13ellmvt_kernelILj1024El21rocsparse_complex_numIfES1_IdES3_S3_EEv20rocsparse_operation_T0_S5_S5_NS_24const_host_device_scalarIT4_EEPKS5_PKT1_PKT2_PT3_21rocsparse_index_base_b
		.amdhsa_group_segment_fixed_size 0
		.amdhsa_private_segment_fixed_size 0
		.amdhsa_kernarg_size 88
		.amdhsa_user_sgpr_count 2
		.amdhsa_user_sgpr_dispatch_ptr 0
		.amdhsa_user_sgpr_queue_ptr 0
		.amdhsa_user_sgpr_kernarg_segment_ptr 1
		.amdhsa_user_sgpr_dispatch_id 0
		.amdhsa_user_sgpr_kernarg_preload_length 0
		.amdhsa_user_sgpr_kernarg_preload_offset 0
		.amdhsa_user_sgpr_private_segment_size 0
		.amdhsa_wavefront_size32 1
		.amdhsa_uses_dynamic_stack 0
		.amdhsa_enable_private_segment 0
		.amdhsa_system_sgpr_workgroup_id_x 1
		.amdhsa_system_sgpr_workgroup_id_y 0
		.amdhsa_system_sgpr_workgroup_id_z 0
		.amdhsa_system_sgpr_workgroup_info 0
		.amdhsa_system_vgpr_workitem_id 0
		.amdhsa_next_free_vgpr 14
		.amdhsa_next_free_sgpr 22
		.amdhsa_named_barrier_count 0
		.amdhsa_reserve_vcc 1
		.amdhsa_float_round_mode_32 0
		.amdhsa_float_round_mode_16_64 0
		.amdhsa_float_denorm_mode_32 3
		.amdhsa_float_denorm_mode_16_64 3
		.amdhsa_fp16_overflow 0
		.amdhsa_memory_ordered 1
		.amdhsa_forward_progress 1
		.amdhsa_inst_pref_size 5
		.amdhsa_round_robin_scheduling 0
		.amdhsa_exception_fp_ieee_invalid_op 0
		.amdhsa_exception_fp_denorm_src 0
		.amdhsa_exception_fp_ieee_div_zero 0
		.amdhsa_exception_fp_ieee_overflow 0
		.amdhsa_exception_fp_ieee_underflow 0
		.amdhsa_exception_fp_ieee_inexact 0
		.amdhsa_exception_int_div_zero 0
	.end_amdhsa_kernel
	.section	.text._ZN9rocsparseL13ellmvt_kernelILj1024El21rocsparse_complex_numIfES1_IdES3_S3_EEv20rocsparse_operation_T0_S5_S5_NS_24const_host_device_scalarIT4_EEPKS5_PKT1_PKT2_PT3_21rocsparse_index_base_b,"axG",@progbits,_ZN9rocsparseL13ellmvt_kernelILj1024El21rocsparse_complex_numIfES1_IdES3_S3_EEv20rocsparse_operation_T0_S5_S5_NS_24const_host_device_scalarIT4_EEPKS5_PKT1_PKT2_PT3_21rocsparse_index_base_b,comdat
.Lfunc_end47:
	.size	_ZN9rocsparseL13ellmvt_kernelILj1024El21rocsparse_complex_numIfES1_IdES3_S3_EEv20rocsparse_operation_T0_S5_S5_NS_24const_host_device_scalarIT4_EEPKS5_PKT1_PKT2_PT3_21rocsparse_index_base_b, .Lfunc_end47-_ZN9rocsparseL13ellmvt_kernelILj1024El21rocsparse_complex_numIfES1_IdES3_S3_EEv20rocsparse_operation_T0_S5_S5_NS_24const_host_device_scalarIT4_EEPKS5_PKT1_PKT2_PT3_21rocsparse_index_base_b
                                        ; -- End function
	.set _ZN9rocsparseL13ellmvt_kernelILj1024El21rocsparse_complex_numIfES1_IdES3_S3_EEv20rocsparse_operation_T0_S5_S5_NS_24const_host_device_scalarIT4_EEPKS5_PKT1_PKT2_PT3_21rocsparse_index_base_b.num_vgpr, 14
	.set _ZN9rocsparseL13ellmvt_kernelILj1024El21rocsparse_complex_numIfES1_IdES3_S3_EEv20rocsparse_operation_T0_S5_S5_NS_24const_host_device_scalarIT4_EEPKS5_PKT1_PKT2_PT3_21rocsparse_index_base_b.num_agpr, 0
	.set _ZN9rocsparseL13ellmvt_kernelILj1024El21rocsparse_complex_numIfES1_IdES3_S3_EEv20rocsparse_operation_T0_S5_S5_NS_24const_host_device_scalarIT4_EEPKS5_PKT1_PKT2_PT3_21rocsparse_index_base_b.numbered_sgpr, 22
	.set _ZN9rocsparseL13ellmvt_kernelILj1024El21rocsparse_complex_numIfES1_IdES3_S3_EEv20rocsparse_operation_T0_S5_S5_NS_24const_host_device_scalarIT4_EEPKS5_PKT1_PKT2_PT3_21rocsparse_index_base_b.num_named_barrier, 0
	.set _ZN9rocsparseL13ellmvt_kernelILj1024El21rocsparse_complex_numIfES1_IdES3_S3_EEv20rocsparse_operation_T0_S5_S5_NS_24const_host_device_scalarIT4_EEPKS5_PKT1_PKT2_PT3_21rocsparse_index_base_b.private_seg_size, 0
	.set _ZN9rocsparseL13ellmvt_kernelILj1024El21rocsparse_complex_numIfES1_IdES3_S3_EEv20rocsparse_operation_T0_S5_S5_NS_24const_host_device_scalarIT4_EEPKS5_PKT1_PKT2_PT3_21rocsparse_index_base_b.uses_vcc, 1
	.set _ZN9rocsparseL13ellmvt_kernelILj1024El21rocsparse_complex_numIfES1_IdES3_S3_EEv20rocsparse_operation_T0_S5_S5_NS_24const_host_device_scalarIT4_EEPKS5_PKT1_PKT2_PT3_21rocsparse_index_base_b.uses_flat_scratch, 0
	.set _ZN9rocsparseL13ellmvt_kernelILj1024El21rocsparse_complex_numIfES1_IdES3_S3_EEv20rocsparse_operation_T0_S5_S5_NS_24const_host_device_scalarIT4_EEPKS5_PKT1_PKT2_PT3_21rocsparse_index_base_b.has_dyn_sized_stack, 0
	.set _ZN9rocsparseL13ellmvt_kernelILj1024El21rocsparse_complex_numIfES1_IdES3_S3_EEv20rocsparse_operation_T0_S5_S5_NS_24const_host_device_scalarIT4_EEPKS5_PKT1_PKT2_PT3_21rocsparse_index_base_b.has_recursion, 0
	.set _ZN9rocsparseL13ellmvt_kernelILj1024El21rocsparse_complex_numIfES1_IdES3_S3_EEv20rocsparse_operation_T0_S5_S5_NS_24const_host_device_scalarIT4_EEPKS5_PKT1_PKT2_PT3_21rocsparse_index_base_b.has_indirect_call, 0
	.section	.AMDGPU.csdata,"",@progbits
; Kernel info:
; codeLenInByte = 516
; TotalNumSgprs: 24
; NumVgprs: 14
; ScratchSize: 0
; MemoryBound: 0
; FloatMode: 240
; IeeeMode: 1
; LDSByteSize: 0 bytes/workgroup (compile time only)
; SGPRBlocks: 0
; VGPRBlocks: 0
; NumSGPRsForWavesPerEU: 24
; NumVGPRsForWavesPerEU: 14
; NamedBarCnt: 0
; Occupancy: 16
; WaveLimiterHint : 1
; COMPUTE_PGM_RSRC2:SCRATCH_EN: 0
; COMPUTE_PGM_RSRC2:USER_SGPR: 2
; COMPUTE_PGM_RSRC2:TRAP_HANDLER: 0
; COMPUTE_PGM_RSRC2:TGID_X_EN: 1
; COMPUTE_PGM_RSRC2:TGID_Y_EN: 0
; COMPUTE_PGM_RSRC2:TGID_Z_EN: 0
; COMPUTE_PGM_RSRC2:TIDIG_COMP_CNT: 0
	.section	.AMDGPU.gpr_maximums,"",@progbits
	.set amdgpu.max_num_vgpr, 0
	.set amdgpu.max_num_agpr, 0
	.set amdgpu.max_num_sgpr, 0
	.section	.AMDGPU.csdata,"",@progbits
	.type	__hip_cuid_ac35b5bfe8736e3,@object ; @__hip_cuid_ac35b5bfe8736e3
	.section	.bss,"aw",@nobits
	.globl	__hip_cuid_ac35b5bfe8736e3
__hip_cuid_ac35b5bfe8736e3:
	.byte	0                               ; 0x0
	.size	__hip_cuid_ac35b5bfe8736e3, 1

	.ident	"AMD clang version 22.0.0git (https://github.com/RadeonOpenCompute/llvm-project roc-7.2.4 26084 f58b06dce1f9c15707c5f808fd002e18c2accf7e)"
	.section	".note.GNU-stack","",@progbits
	.addrsig
	.addrsig_sym __hip_cuid_ac35b5bfe8736e3
	.amdgpu_metadata
---
amdhsa.kernels:
  - .args:
      - .offset:         0
        .size:           4
        .value_kind:     by_value
      - .offset:         4
        .size:           4
        .value_kind:     by_value
      - .offset:         8
        .size:           4
        .value_kind:     by_value
      - .offset:         16
        .size:           8
        .value_kind:     by_value
      - .actual_access:  read_only
        .address_space:  global
        .offset:         24
        .size:           8
        .value_kind:     global_buffer
      - .actual_access:  read_only
        .address_space:  global
        .offset:         32
        .size:           8
        .value_kind:     global_buffer
      - .actual_access:  read_only
        .address_space:  global
        .offset:         40
        .size:           8
        .value_kind:     global_buffer
      - .offset:         48
        .size:           8
        .value_kind:     by_value
      - .address_space:  global
        .offset:         56
        .size:           8
        .value_kind:     global_buffer
      - .offset:         64
        .size:           4
        .value_kind:     by_value
      - .offset:         68
        .size:           1
        .value_kind:     by_value
    .group_segment_fixed_size: 0
    .kernarg_segment_align: 8
    .kernarg_segment_size: 72
    .language:       OpenCL C
    .language_version:
      - 2
      - 0
    .max_flat_workgroup_size: 512
    .name:           _ZN9rocsparseL13ellmvn_kernelILj512EiffffEEvT0_S1_S1_NS_24const_host_device_scalarIT4_EEPKS1_PKT1_PKT2_S4_PT3_21rocsparse_index_base_b
    .private_segment_fixed_size: 0
    .sgpr_count:     22
    .sgpr_spill_count: 0
    .symbol:         _ZN9rocsparseL13ellmvn_kernelILj512EiffffEEvT0_S1_S1_NS_24const_host_device_scalarIT4_EEPKS1_PKT1_PKT2_S4_PT3_21rocsparse_index_base_b.kd
    .uniform_work_group_size: 1
    .uses_dynamic_stack: false
    .vgpr_count:     10
    .vgpr_spill_count: 0
    .wavefront_size: 32
  - .args:
      - .offset:         0
        .size:           4
        .value_kind:     by_value
      - .offset:         4
        .size:           4
        .value_kind:     by_value
      - .offset:         8
        .size:           4
        .value_kind:     by_value
      - .offset:         12
        .size:           4
        .value_kind:     by_value
      - .offset:         16
        .size:           8
        .value_kind:     by_value
      - .actual_access:  read_only
        .address_space:  global
        .offset:         24
        .size:           8
        .value_kind:     global_buffer
      - .actual_access:  read_only
        .address_space:  global
        .offset:         32
        .size:           8
        .value_kind:     global_buffer
      - .actual_access:  read_only
        .address_space:  global
        .offset:         40
        .size:           8
        .value_kind:     global_buffer
      - .address_space:  global
        .offset:         48
        .size:           8
        .value_kind:     global_buffer
      - .offset:         56
        .size:           4
        .value_kind:     by_value
      - .offset:         60
        .size:           1
        .value_kind:     by_value
    .group_segment_fixed_size: 0
    .kernarg_segment_align: 8
    .kernarg_segment_size: 64
    .language:       OpenCL C
    .language_version:
      - 2
      - 0
    .max_flat_workgroup_size: 1024
    .name:           _ZN9rocsparseL13ellmvt_kernelILj1024EiffffEEv20rocsparse_operation_T0_S2_S2_NS_24const_host_device_scalarIT4_EEPKS2_PKT1_PKT2_PT3_21rocsparse_index_base_b
    .private_segment_fixed_size: 0
    .sgpr_count:     20
    .sgpr_spill_count: 0
    .symbol:         _ZN9rocsparseL13ellmvt_kernelILj1024EiffffEEv20rocsparse_operation_T0_S2_S2_NS_24const_host_device_scalarIT4_EEPKS2_PKT1_PKT2_PT3_21rocsparse_index_base_b.kd
    .uniform_work_group_size: 1
    .uses_dynamic_stack: false
    .vgpr_count:     6
    .vgpr_spill_count: 0
    .wavefront_size: 32
  - .args:
      - .offset:         0
        .size:           8
        .value_kind:     by_value
      - .offset:         8
        .size:           8
        .value_kind:     by_value
      - .offset:         16
        .size:           8
        .value_kind:     by_value
      - .offset:         24
        .size:           8
        .value_kind:     by_value
      - .actual_access:  read_only
        .address_space:  global
        .offset:         32
        .size:           8
        .value_kind:     global_buffer
      - .actual_access:  read_only
        .address_space:  global
        .offset:         40
        .size:           8
        .value_kind:     global_buffer
      - .actual_access:  read_only
        .address_space:  global
        .offset:         48
        .size:           8
        .value_kind:     global_buffer
      - .offset:         56
        .size:           8
        .value_kind:     by_value
      - .address_space:  global
        .offset:         64
        .size:           8
        .value_kind:     global_buffer
      - .offset:         72
        .size:           4
        .value_kind:     by_value
      - .offset:         76
        .size:           1
        .value_kind:     by_value
    .group_segment_fixed_size: 0
    .kernarg_segment_align: 8
    .kernarg_segment_size: 80
    .language:       OpenCL C
    .language_version:
      - 2
      - 0
    .max_flat_workgroup_size: 512
    .name:           _ZN9rocsparseL13ellmvn_kernelILj512ElffffEEvT0_S1_S1_NS_24const_host_device_scalarIT4_EEPKS1_PKT1_PKT2_S4_PT3_21rocsparse_index_base_b
    .private_segment_fixed_size: 0
    .sgpr_count:     26
    .sgpr_spill_count: 0
    .symbol:         _ZN9rocsparseL13ellmvn_kernelILj512ElffffEEvT0_S1_S1_NS_24const_host_device_scalarIT4_EEPKS1_PKT1_PKT2_S4_PT3_21rocsparse_index_base_b.kd
    .uniform_work_group_size: 1
    .uses_dynamic_stack: false
    .vgpr_count:     11
    .vgpr_spill_count: 0
    .wavefront_size: 32
  - .args:
      - .offset:         0
        .size:           4
        .value_kind:     by_value
      - .offset:         8
        .size:           8
        .value_kind:     by_value
      - .offset:         16
        .size:           8
        .value_kind:     by_value
      - .offset:         24
        .size:           8
        .value_kind:     by_value
      - .offset:         32
        .size:           8
        .value_kind:     by_value
      - .actual_access:  read_only
        .address_space:  global
        .offset:         40
        .size:           8
        .value_kind:     global_buffer
      - .actual_access:  read_only
        .address_space:  global
        .offset:         48
        .size:           8
        .value_kind:     global_buffer
      - .actual_access:  read_only
        .address_space:  global
        .offset:         56
        .size:           8
        .value_kind:     global_buffer
      - .address_space:  global
        .offset:         64
        .size:           8
        .value_kind:     global_buffer
      - .offset:         72
        .size:           4
        .value_kind:     by_value
      - .offset:         76
        .size:           1
        .value_kind:     by_value
    .group_segment_fixed_size: 0
    .kernarg_segment_align: 8
    .kernarg_segment_size: 80
    .language:       OpenCL C
    .language_version:
      - 2
      - 0
    .max_flat_workgroup_size: 1024
    .name:           _ZN9rocsparseL13ellmvt_kernelILj1024ElffffEEv20rocsparse_operation_T0_S2_S2_NS_24const_host_device_scalarIT4_EEPKS2_PKT1_PKT2_PT3_21rocsparse_index_base_b
    .private_segment_fixed_size: 0
    .sgpr_count:     22
    .sgpr_spill_count: 0
    .symbol:         _ZN9rocsparseL13ellmvt_kernelILj1024ElffffEEv20rocsparse_operation_T0_S2_S2_NS_24const_host_device_scalarIT4_EEPKS2_PKT1_PKT2_PT3_21rocsparse_index_base_b.kd
    .uniform_work_group_size: 1
    .uses_dynamic_stack: false
    .vgpr_count:     8
    .vgpr_spill_count: 0
    .wavefront_size: 32
  - .args:
      - .offset:         0
        .size:           4
        .value_kind:     by_value
      - .offset:         4
        .size:           4
        .value_kind:     by_value
      - .offset:         8
        .size:           4
        .value_kind:     by_value
      - .offset:         16
        .size:           8
        .value_kind:     by_value
      - .actual_access:  read_only
        .address_space:  global
        .offset:         24
        .size:           8
        .value_kind:     global_buffer
      - .actual_access:  read_only
        .address_space:  global
        .offset:         32
        .size:           8
        .value_kind:     global_buffer
      - .actual_access:  read_only
        .address_space:  global
        .offset:         40
        .size:           8
        .value_kind:     global_buffer
      - .offset:         48
        .size:           8
        .value_kind:     by_value
      - .address_space:  global
        .offset:         56
        .size:           8
        .value_kind:     global_buffer
      - .offset:         64
        .size:           4
        .value_kind:     by_value
      - .offset:         68
        .size:           1
        .value_kind:     by_value
    .group_segment_fixed_size: 0
    .kernarg_segment_align: 8
    .kernarg_segment_size: 72
    .language:       OpenCL C
    .language_version:
      - 2
      - 0
    .max_flat_workgroup_size: 512
    .name:           _ZN9rocsparseL13ellmvn_kernelILj512EiddddEEvT0_S1_S1_NS_24const_host_device_scalarIT4_EEPKS1_PKT1_PKT2_S4_PT3_21rocsparse_index_base_b
    .private_segment_fixed_size: 0
    .sgpr_count:     18
    .sgpr_spill_count: 0
    .symbol:         _ZN9rocsparseL13ellmvn_kernelILj512EiddddEEvT0_S1_S1_NS_24const_host_device_scalarIT4_EEPKS1_PKT1_PKT2_S4_PT3_21rocsparse_index_base_b.kd
    .uniform_work_group_size: 1
    .uses_dynamic_stack: false
    .vgpr_count:     18
    .vgpr_spill_count: 0
    .wavefront_size: 32
  - .args:
      - .offset:         0
        .size:           4
        .value_kind:     by_value
      - .offset:         4
        .size:           4
        .value_kind:     by_value
      - .offset:         8
        .size:           4
        .value_kind:     by_value
      - .offset:         12
        .size:           4
        .value_kind:     by_value
      - .offset:         16
        .size:           8
        .value_kind:     by_value
      - .actual_access:  read_only
        .address_space:  global
        .offset:         24
        .size:           8
        .value_kind:     global_buffer
      - .actual_access:  read_only
        .address_space:  global
        .offset:         32
        .size:           8
        .value_kind:     global_buffer
      - .actual_access:  read_only
        .address_space:  global
        .offset:         40
        .size:           8
        .value_kind:     global_buffer
      - .address_space:  global
        .offset:         48
        .size:           8
        .value_kind:     global_buffer
      - .offset:         56
        .size:           4
        .value_kind:     by_value
      - .offset:         60
        .size:           1
        .value_kind:     by_value
    .group_segment_fixed_size: 0
    .kernarg_segment_align: 8
    .kernarg_segment_size: 64
    .language:       OpenCL C
    .language_version:
      - 2
      - 0
    .max_flat_workgroup_size: 1024
    .name:           _ZN9rocsparseL13ellmvt_kernelILj1024EiddddEEv20rocsparse_operation_T0_S2_S2_NS_24const_host_device_scalarIT4_EEPKS2_PKT1_PKT2_PT3_21rocsparse_index_base_b
    .private_segment_fixed_size: 0
    .sgpr_count:     17
    .sgpr_spill_count: 0
    .symbol:         _ZN9rocsparseL13ellmvt_kernelILj1024EiddddEEv20rocsparse_operation_T0_S2_S2_NS_24const_host_device_scalarIT4_EEPKS2_PKT1_PKT2_PT3_21rocsparse_index_base_b.kd
    .uniform_work_group_size: 1
    .uses_dynamic_stack: false
    .vgpr_count:     10
    .vgpr_spill_count: 0
    .wavefront_size: 32
  - .args:
      - .offset:         0
        .size:           8
        .value_kind:     by_value
      - .offset:         8
        .size:           8
        .value_kind:     by_value
      - .offset:         16
        .size:           8
        .value_kind:     by_value
      - .offset:         24
        .size:           8
        .value_kind:     by_value
      - .actual_access:  read_only
        .address_space:  global
        .offset:         32
        .size:           8
        .value_kind:     global_buffer
      - .actual_access:  read_only
        .address_space:  global
        .offset:         40
        .size:           8
        .value_kind:     global_buffer
      - .actual_access:  read_only
        .address_space:  global
        .offset:         48
        .size:           8
        .value_kind:     global_buffer
      - .offset:         56
        .size:           8
        .value_kind:     by_value
      - .address_space:  global
        .offset:         64
        .size:           8
        .value_kind:     global_buffer
      - .offset:         72
        .size:           4
        .value_kind:     by_value
      - .offset:         76
        .size:           1
        .value_kind:     by_value
    .group_segment_fixed_size: 0
    .kernarg_segment_align: 8
    .kernarg_segment_size: 80
    .language:       OpenCL C
    .language_version:
      - 2
      - 0
    .max_flat_workgroup_size: 512
    .name:           _ZN9rocsparseL13ellmvn_kernelILj512ElddddEEvT0_S1_S1_NS_24const_host_device_scalarIT4_EEPKS1_PKT1_PKT2_S4_PT3_21rocsparse_index_base_b
    .private_segment_fixed_size: 0
    .sgpr_count:     22
    .sgpr_spill_count: 0
    .symbol:         _ZN9rocsparseL13ellmvn_kernelILj512ElddddEEvT0_S1_S1_NS_24const_host_device_scalarIT4_EEPKS1_PKT1_PKT2_S4_PT3_21rocsparse_index_base_b.kd
    .uniform_work_group_size: 1
    .uses_dynamic_stack: false
    .vgpr_count:     18
    .vgpr_spill_count: 0
    .wavefront_size: 32
  - .args:
      - .offset:         0
        .size:           4
        .value_kind:     by_value
      - .offset:         8
        .size:           8
        .value_kind:     by_value
      - .offset:         16
        .size:           8
        .value_kind:     by_value
      - .offset:         24
        .size:           8
        .value_kind:     by_value
      - .offset:         32
        .size:           8
        .value_kind:     by_value
      - .actual_access:  read_only
        .address_space:  global
        .offset:         40
        .size:           8
        .value_kind:     global_buffer
      - .actual_access:  read_only
        .address_space:  global
        .offset:         48
        .size:           8
        .value_kind:     global_buffer
      - .actual_access:  read_only
        .address_space:  global
        .offset:         56
        .size:           8
        .value_kind:     global_buffer
      - .address_space:  global
        .offset:         64
        .size:           8
        .value_kind:     global_buffer
      - .offset:         72
        .size:           4
        .value_kind:     by_value
      - .offset:         76
        .size:           1
        .value_kind:     by_value
    .group_segment_fixed_size: 0
    .kernarg_segment_align: 8
    .kernarg_segment_size: 80
    .language:       OpenCL C
    .language_version:
      - 2
      - 0
    .max_flat_workgroup_size: 1024
    .name:           _ZN9rocsparseL13ellmvt_kernelILj1024ElddddEEv20rocsparse_operation_T0_S2_S2_NS_24const_host_device_scalarIT4_EEPKS2_PKT1_PKT2_PT3_21rocsparse_index_base_b
    .private_segment_fixed_size: 0
    .sgpr_count:     22
    .sgpr_spill_count: 0
    .symbol:         _ZN9rocsparseL13ellmvt_kernelILj1024ElddddEEv20rocsparse_operation_T0_S2_S2_NS_24const_host_device_scalarIT4_EEPKS2_PKT1_PKT2_PT3_21rocsparse_index_base_b.kd
    .uniform_work_group_size: 1
    .uses_dynamic_stack: false
    .vgpr_count:     8
    .vgpr_spill_count: 0
    .wavefront_size: 32
  - .args:
      - .offset:         0
        .size:           4
        .value_kind:     by_value
      - .offset:         4
        .size:           4
        .value_kind:     by_value
      - .offset:         8
        .size:           4
        .value_kind:     by_value
      - .offset:         16
        .size:           8
        .value_kind:     by_value
      - .actual_access:  read_only
        .address_space:  global
        .offset:         24
        .size:           8
        .value_kind:     global_buffer
      - .actual_access:  read_only
        .address_space:  global
        .offset:         32
        .size:           8
        .value_kind:     global_buffer
      - .actual_access:  read_only
        .address_space:  global
        .offset:         40
        .size:           8
        .value_kind:     global_buffer
      - .offset:         48
        .size:           8
        .value_kind:     by_value
      - .address_space:  global
        .offset:         56
        .size:           8
        .value_kind:     global_buffer
      - .offset:         64
        .size:           4
        .value_kind:     by_value
      - .offset:         68
        .size:           1
        .value_kind:     by_value
    .group_segment_fixed_size: 0
    .kernarg_segment_align: 8
    .kernarg_segment_size: 72
    .language:       OpenCL C
    .language_version:
      - 2
      - 0
    .max_flat_workgroup_size: 512
    .name:           _ZN9rocsparseL13ellmvn_kernelILj512Ei21rocsparse_complex_numIfES2_S2_S2_EEvT0_S3_S3_NS_24const_host_device_scalarIT4_EEPKS3_PKT1_PKT2_S6_PT3_21rocsparse_index_base_b
    .private_segment_fixed_size: 0
    .sgpr_count:     18
    .sgpr_spill_count: 0
    .symbol:         _ZN9rocsparseL13ellmvn_kernelILj512Ei21rocsparse_complex_numIfES2_S2_S2_EEvT0_S3_S3_NS_24const_host_device_scalarIT4_EEPKS3_PKT1_PKT2_S6_PT3_21rocsparse_index_base_b.kd
    .uniform_work_group_size: 1
    .uses_dynamic_stack: false
    .vgpr_count:     16
    .vgpr_spill_count: 0
    .wavefront_size: 32
  - .args:
      - .offset:         0
        .size:           4
        .value_kind:     by_value
      - .offset:         4
        .size:           4
        .value_kind:     by_value
      - .offset:         8
        .size:           4
        .value_kind:     by_value
      - .offset:         12
        .size:           4
        .value_kind:     by_value
      - .offset:         16
        .size:           8
        .value_kind:     by_value
      - .actual_access:  read_only
        .address_space:  global
        .offset:         24
        .size:           8
        .value_kind:     global_buffer
      - .actual_access:  read_only
        .address_space:  global
        .offset:         32
        .size:           8
        .value_kind:     global_buffer
      - .actual_access:  read_only
        .address_space:  global
        .offset:         40
        .size:           8
        .value_kind:     global_buffer
      - .address_space:  global
        .offset:         48
        .size:           8
        .value_kind:     global_buffer
      - .offset:         56
        .size:           4
        .value_kind:     by_value
      - .offset:         60
        .size:           1
        .value_kind:     by_value
    .group_segment_fixed_size: 0
    .kernarg_segment_align: 8
    .kernarg_segment_size: 64
    .language:       OpenCL C
    .language_version:
      - 2
      - 0
    .max_flat_workgroup_size: 1024
    .name:           _ZN9rocsparseL13ellmvt_kernelILj1024Ei21rocsparse_complex_numIfES2_S2_S2_EEv20rocsparse_operation_T0_S4_S4_NS_24const_host_device_scalarIT4_EEPKS4_PKT1_PKT2_PT3_21rocsparse_index_base_b
    .private_segment_fixed_size: 0
    .sgpr_count:     20
    .sgpr_spill_count: 0
    .symbol:         _ZN9rocsparseL13ellmvt_kernelILj1024Ei21rocsparse_complex_numIfES2_S2_S2_EEv20rocsparse_operation_T0_S4_S4_NS_24const_host_device_scalarIT4_EEPKS4_PKT1_PKT2_PT3_21rocsparse_index_base_b.kd
    .uniform_work_group_size: 1
    .uses_dynamic_stack: false
    .vgpr_count:     13
    .vgpr_spill_count: 0
    .wavefront_size: 32
  - .args:
      - .offset:         0
        .size:           8
        .value_kind:     by_value
      - .offset:         8
        .size:           8
        .value_kind:     by_value
      - .offset:         16
        .size:           8
        .value_kind:     by_value
      - .offset:         24
        .size:           8
        .value_kind:     by_value
      - .actual_access:  read_only
        .address_space:  global
        .offset:         32
        .size:           8
        .value_kind:     global_buffer
      - .actual_access:  read_only
        .address_space:  global
        .offset:         40
        .size:           8
        .value_kind:     global_buffer
      - .actual_access:  read_only
        .address_space:  global
        .offset:         48
        .size:           8
        .value_kind:     global_buffer
      - .offset:         56
        .size:           8
        .value_kind:     by_value
      - .address_space:  global
        .offset:         64
        .size:           8
        .value_kind:     global_buffer
      - .offset:         72
        .size:           4
        .value_kind:     by_value
      - .offset:         76
        .size:           1
        .value_kind:     by_value
    .group_segment_fixed_size: 0
    .kernarg_segment_align: 8
    .kernarg_segment_size: 80
    .language:       OpenCL C
    .language_version:
      - 2
      - 0
    .max_flat_workgroup_size: 512
    .name:           _ZN9rocsparseL13ellmvn_kernelILj512El21rocsparse_complex_numIfES2_S2_S2_EEvT0_S3_S3_NS_24const_host_device_scalarIT4_EEPKS3_PKT1_PKT2_S6_PT3_21rocsparse_index_base_b
    .private_segment_fixed_size: 0
    .sgpr_count:     23
    .sgpr_spill_count: 0
    .symbol:         _ZN9rocsparseL13ellmvn_kernelILj512El21rocsparse_complex_numIfES2_S2_S2_EEvT0_S3_S3_NS_24const_host_device_scalarIT4_EEPKS3_PKT1_PKT2_S6_PT3_21rocsparse_index_base_b.kd
    .uniform_work_group_size: 1
    .uses_dynamic_stack: false
    .vgpr_count:     18
    .vgpr_spill_count: 0
    .wavefront_size: 32
  - .args:
      - .offset:         0
        .size:           4
        .value_kind:     by_value
      - .offset:         8
        .size:           8
        .value_kind:     by_value
      - .offset:         16
        .size:           8
        .value_kind:     by_value
      - .offset:         24
        .size:           8
        .value_kind:     by_value
      - .offset:         32
        .size:           8
        .value_kind:     by_value
      - .actual_access:  read_only
        .address_space:  global
        .offset:         40
        .size:           8
        .value_kind:     global_buffer
      - .actual_access:  read_only
        .address_space:  global
        .offset:         48
        .size:           8
        .value_kind:     global_buffer
      - .actual_access:  read_only
        .address_space:  global
        .offset:         56
        .size:           8
        .value_kind:     global_buffer
      - .address_space:  global
        .offset:         64
        .size:           8
        .value_kind:     global_buffer
      - .offset:         72
        .size:           4
        .value_kind:     by_value
      - .offset:         76
        .size:           1
        .value_kind:     by_value
    .group_segment_fixed_size: 0
    .kernarg_segment_align: 8
    .kernarg_segment_size: 80
    .language:       OpenCL C
    .language_version:
      - 2
      - 0
    .max_flat_workgroup_size: 1024
    .name:           _ZN9rocsparseL13ellmvt_kernelILj1024El21rocsparse_complex_numIfES2_S2_S2_EEv20rocsparse_operation_T0_S4_S4_NS_24const_host_device_scalarIT4_EEPKS4_PKT1_PKT2_PT3_21rocsparse_index_base_b
    .private_segment_fixed_size: 0
    .sgpr_count:     24
    .sgpr_spill_count: 0
    .symbol:         _ZN9rocsparseL13ellmvt_kernelILj1024El21rocsparse_complex_numIfES2_S2_S2_EEv20rocsparse_operation_T0_S4_S4_NS_24const_host_device_scalarIT4_EEPKS4_PKT1_PKT2_PT3_21rocsparse_index_base_b.kd
    .uniform_work_group_size: 1
    .uses_dynamic_stack: false
    .vgpr_count:     9
    .vgpr_spill_count: 0
    .wavefront_size: 32
  - .args:
      - .offset:         0
        .size:           4
        .value_kind:     by_value
      - .offset:         4
        .size:           4
        .value_kind:     by_value
      - .offset:         8
        .size:           4
        .value_kind:     by_value
      - .offset:         16
        .size:           16
        .value_kind:     by_value
      - .actual_access:  read_only
        .address_space:  global
        .offset:         32
        .size:           8
        .value_kind:     global_buffer
      - .actual_access:  read_only
        .address_space:  global
        .offset:         40
        .size:           8
        .value_kind:     global_buffer
      - .actual_access:  read_only
        .address_space:  global
        .offset:         48
        .size:           8
        .value_kind:     global_buffer
      - .offset:         56
        .size:           16
        .value_kind:     by_value
      - .address_space:  global
        .offset:         72
        .size:           8
        .value_kind:     global_buffer
      - .offset:         80
        .size:           4
        .value_kind:     by_value
      - .offset:         84
        .size:           1
        .value_kind:     by_value
    .group_segment_fixed_size: 0
    .kernarg_segment_align: 8
    .kernarg_segment_size: 88
    .language:       OpenCL C
    .language_version:
      - 2
      - 0
    .max_flat_workgroup_size: 512
    .name:           _ZN9rocsparseL13ellmvn_kernelILj512Ei21rocsparse_complex_numIdES2_S2_S2_EEvT0_S3_S3_NS_24const_host_device_scalarIT4_EEPKS3_PKT1_PKT2_S6_PT3_21rocsparse_index_base_b
    .private_segment_fixed_size: 0
    .sgpr_count:     18
    .sgpr_spill_count: 0
    .symbol:         _ZN9rocsparseL13ellmvn_kernelILj512Ei21rocsparse_complex_numIdES2_S2_S2_EEvT0_S3_S3_NS_24const_host_device_scalarIT4_EEPKS3_PKT1_PKT2_S6_PT3_21rocsparse_index_base_b.kd
    .uniform_work_group_size: 1
    .uses_dynamic_stack: false
    .vgpr_count:     26
    .vgpr_spill_count: 0
    .wavefront_size: 32
  - .args:
      - .offset:         0
        .size:           4
        .value_kind:     by_value
      - .offset:         4
        .size:           4
        .value_kind:     by_value
      - .offset:         8
        .size:           4
        .value_kind:     by_value
      - .offset:         12
        .size:           4
        .value_kind:     by_value
      - .offset:         16
        .size:           16
        .value_kind:     by_value
      - .actual_access:  read_only
        .address_space:  global
        .offset:         32
        .size:           8
        .value_kind:     global_buffer
      - .actual_access:  read_only
        .address_space:  global
        .offset:         40
        .size:           8
        .value_kind:     global_buffer
      - .actual_access:  read_only
        .address_space:  global
        .offset:         48
        .size:           8
        .value_kind:     global_buffer
      - .address_space:  global
        .offset:         56
        .size:           8
        .value_kind:     global_buffer
      - .offset:         64
        .size:           4
        .value_kind:     by_value
      - .offset:         68
        .size:           1
        .value_kind:     by_value
    .group_segment_fixed_size: 0
    .kernarg_segment_align: 8
    .kernarg_segment_size: 72
    .language:       OpenCL C
    .language_version:
      - 2
      - 0
    .max_flat_workgroup_size: 1024
    .name:           _ZN9rocsparseL13ellmvt_kernelILj1024Ei21rocsparse_complex_numIdES2_S2_S2_EEv20rocsparse_operation_T0_S4_S4_NS_24const_host_device_scalarIT4_EEPKS4_PKT1_PKT2_PT3_21rocsparse_index_base_b
    .private_segment_fixed_size: 0
    .sgpr_count:     20
    .sgpr_spill_count: 0
    .symbol:         _ZN9rocsparseL13ellmvt_kernelILj1024Ei21rocsparse_complex_numIdES2_S2_S2_EEv20rocsparse_operation_T0_S4_S4_NS_24const_host_device_scalarIT4_EEPKS4_PKT1_PKT2_PT3_21rocsparse_index_base_b.kd
    .uniform_work_group_size: 1
    .uses_dynamic_stack: false
    .vgpr_count:     16
    .vgpr_spill_count: 0
    .wavefront_size: 32
  - .args:
      - .offset:         0
        .size:           8
        .value_kind:     by_value
      - .offset:         8
        .size:           8
        .value_kind:     by_value
      - .offset:         16
        .size:           8
        .value_kind:     by_value
      - .offset:         24
        .size:           16
        .value_kind:     by_value
      - .actual_access:  read_only
        .address_space:  global
        .offset:         40
        .size:           8
        .value_kind:     global_buffer
      - .actual_access:  read_only
        .address_space:  global
        .offset:         48
        .size:           8
        .value_kind:     global_buffer
      - .actual_access:  read_only
        .address_space:  global
        .offset:         56
        .size:           8
        .value_kind:     global_buffer
      - .offset:         64
        .size:           16
        .value_kind:     by_value
      - .address_space:  global
        .offset:         80
        .size:           8
        .value_kind:     global_buffer
      - .offset:         88
        .size:           4
        .value_kind:     by_value
      - .offset:         92
        .size:           1
        .value_kind:     by_value
    .group_segment_fixed_size: 0
    .kernarg_segment_align: 8
    .kernarg_segment_size: 96
    .language:       OpenCL C
    .language_version:
      - 2
      - 0
    .max_flat_workgroup_size: 512
    .name:           _ZN9rocsparseL13ellmvn_kernelILj512El21rocsparse_complex_numIdES2_S2_S2_EEvT0_S3_S3_NS_24const_host_device_scalarIT4_EEPKS3_PKT1_PKT2_S6_PT3_21rocsparse_index_base_b
    .private_segment_fixed_size: 0
    .sgpr_count:     22
    .sgpr_spill_count: 0
    .symbol:         _ZN9rocsparseL13ellmvn_kernelILj512El21rocsparse_complex_numIdES2_S2_S2_EEvT0_S3_S3_NS_24const_host_device_scalarIT4_EEPKS3_PKT1_PKT2_S6_PT3_21rocsparse_index_base_b.kd
    .uniform_work_group_size: 1
    .uses_dynamic_stack: false
    .vgpr_count:     28
    .vgpr_spill_count: 0
    .wavefront_size: 32
  - .args:
      - .offset:         0
        .size:           4
        .value_kind:     by_value
      - .offset:         8
        .size:           8
        .value_kind:     by_value
      - .offset:         16
        .size:           8
        .value_kind:     by_value
      - .offset:         24
        .size:           8
        .value_kind:     by_value
      - .offset:         32
        .size:           16
        .value_kind:     by_value
      - .actual_access:  read_only
        .address_space:  global
        .offset:         48
        .size:           8
        .value_kind:     global_buffer
      - .actual_access:  read_only
        .address_space:  global
        .offset:         56
        .size:           8
        .value_kind:     global_buffer
      - .actual_access:  read_only
        .address_space:  global
        .offset:         64
        .size:           8
        .value_kind:     global_buffer
      - .address_space:  global
        .offset:         72
        .size:           8
        .value_kind:     global_buffer
      - .offset:         80
        .size:           4
        .value_kind:     by_value
      - .offset:         84
        .size:           1
        .value_kind:     by_value
    .group_segment_fixed_size: 0
    .kernarg_segment_align: 8
    .kernarg_segment_size: 88
    .language:       OpenCL C
    .language_version:
      - 2
      - 0
    .max_flat_workgroup_size: 1024
    .name:           _ZN9rocsparseL13ellmvt_kernelILj1024El21rocsparse_complex_numIdES2_S2_S2_EEv20rocsparse_operation_T0_S4_S4_NS_24const_host_device_scalarIT4_EEPKS4_PKT1_PKT2_PT3_21rocsparse_index_base_b
    .private_segment_fixed_size: 0
    .sgpr_count:     24
    .sgpr_spill_count: 0
    .symbol:         _ZN9rocsparseL13ellmvt_kernelILj1024El21rocsparse_complex_numIdES2_S2_S2_EEv20rocsparse_operation_T0_S4_S4_NS_24const_host_device_scalarIT4_EEPKS4_PKT1_PKT2_PT3_21rocsparse_index_base_b.kd
    .uniform_work_group_size: 1
    .uses_dynamic_stack: false
    .vgpr_count:     16
    .vgpr_spill_count: 0
    .wavefront_size: 32
  - .args:
      - .offset:         0
        .size:           4
        .value_kind:     by_value
      - .offset:         4
        .size:           4
        .value_kind:     by_value
      - .offset:         8
        .size:           4
        .value_kind:     by_value
      - .offset:         16
        .size:           8
        .value_kind:     by_value
      - .actual_access:  read_only
        .address_space:  global
        .offset:         24
        .size:           8
        .value_kind:     global_buffer
      - .actual_access:  read_only
        .address_space:  global
        .offset:         32
        .size:           8
        .value_kind:     global_buffer
      - .actual_access:  read_only
        .address_space:  global
        .offset:         40
        .size:           8
        .value_kind:     global_buffer
      - .offset:         48
        .size:           8
        .value_kind:     by_value
      - .address_space:  global
        .offset:         56
        .size:           8
        .value_kind:     global_buffer
      - .offset:         64
        .size:           4
        .value_kind:     by_value
      - .offset:         68
        .size:           1
        .value_kind:     by_value
    .group_segment_fixed_size: 0
    .kernarg_segment_align: 8
    .kernarg_segment_size: 72
    .language:       OpenCL C
    .language_version:
      - 2
      - 0
    .max_flat_workgroup_size: 512
    .name:           _ZN9rocsparseL13ellmvn_kernelILj512EiaaiiEEvT0_S1_S1_NS_24const_host_device_scalarIT4_EEPKS1_PKT1_PKT2_S4_PT3_21rocsparse_index_base_b
    .private_segment_fixed_size: 0
    .sgpr_count:     22
    .sgpr_spill_count: 0
    .symbol:         _ZN9rocsparseL13ellmvn_kernelILj512EiaaiiEEvT0_S1_S1_NS_24const_host_device_scalarIT4_EEPKS1_PKT1_PKT2_S4_PT3_21rocsparse_index_base_b.kd
    .uniform_work_group_size: 1
    .uses_dynamic_stack: false
    .vgpr_count:     10
    .vgpr_spill_count: 0
    .wavefront_size: 32
  - .args:
      - .offset:         0
        .size:           4
        .value_kind:     by_value
      - .offset:         4
        .size:           4
        .value_kind:     by_value
      - .offset:         8
        .size:           4
        .value_kind:     by_value
      - .offset:         12
        .size:           4
        .value_kind:     by_value
      - .offset:         16
        .size:           8
        .value_kind:     by_value
      - .actual_access:  read_only
        .address_space:  global
        .offset:         24
        .size:           8
        .value_kind:     global_buffer
      - .actual_access:  read_only
        .address_space:  global
        .offset:         32
        .size:           8
        .value_kind:     global_buffer
      - .actual_access:  read_only
        .address_space:  global
        .offset:         40
        .size:           8
        .value_kind:     global_buffer
      - .address_space:  global
        .offset:         48
        .size:           8
        .value_kind:     global_buffer
      - .offset:         56
        .size:           4
        .value_kind:     by_value
      - .offset:         60
        .size:           1
        .value_kind:     by_value
    .group_segment_fixed_size: 0
    .kernarg_segment_align: 8
    .kernarg_segment_size: 64
    .language:       OpenCL C
    .language_version:
      - 2
      - 0
    .max_flat_workgroup_size: 1024
    .name:           _ZN9rocsparseL13ellmvt_kernelILj1024EiaaiiEEv20rocsparse_operation_T0_S2_S2_NS_24const_host_device_scalarIT4_EEPKS2_PKT1_PKT2_PT3_21rocsparse_index_base_b
    .private_segment_fixed_size: 0
    .sgpr_count:     17
    .sgpr_spill_count: 0
    .symbol:         _ZN9rocsparseL13ellmvt_kernelILj1024EiaaiiEEv20rocsparse_operation_T0_S2_S2_NS_24const_host_device_scalarIT4_EEPKS2_PKT1_PKT2_PT3_21rocsparse_index_base_b.kd
    .uniform_work_group_size: 1
    .uses_dynamic_stack: false
    .vgpr_count:     7
    .vgpr_spill_count: 0
    .wavefront_size: 32
  - .args:
      - .offset:         0
        .size:           8
        .value_kind:     by_value
      - .offset:         8
        .size:           8
        .value_kind:     by_value
      - .offset:         16
        .size:           8
        .value_kind:     by_value
      - .offset:         24
        .size:           8
        .value_kind:     by_value
      - .actual_access:  read_only
        .address_space:  global
        .offset:         32
        .size:           8
        .value_kind:     global_buffer
      - .actual_access:  read_only
        .address_space:  global
        .offset:         40
        .size:           8
        .value_kind:     global_buffer
      - .actual_access:  read_only
        .address_space:  global
        .offset:         48
        .size:           8
        .value_kind:     global_buffer
      - .offset:         56
        .size:           8
        .value_kind:     by_value
      - .address_space:  global
        .offset:         64
        .size:           8
        .value_kind:     global_buffer
      - .offset:         72
        .size:           4
        .value_kind:     by_value
      - .offset:         76
        .size:           1
        .value_kind:     by_value
    .group_segment_fixed_size: 0
    .kernarg_segment_align: 8
    .kernarg_segment_size: 80
    .language:       OpenCL C
    .language_version:
      - 2
      - 0
    .max_flat_workgroup_size: 512
    .name:           _ZN9rocsparseL13ellmvn_kernelILj512ElaaiiEEvT0_S1_S1_NS_24const_host_device_scalarIT4_EEPKS1_PKT1_PKT2_S4_PT3_21rocsparse_index_base_b
    .private_segment_fixed_size: 0
    .sgpr_count:     26
    .sgpr_spill_count: 0
    .symbol:         _ZN9rocsparseL13ellmvn_kernelILj512ElaaiiEEvT0_S1_S1_NS_24const_host_device_scalarIT4_EEPKS1_PKT1_PKT2_S4_PT3_21rocsparse_index_base_b.kd
    .uniform_work_group_size: 1
    .uses_dynamic_stack: false
    .vgpr_count:     11
    .vgpr_spill_count: 0
    .wavefront_size: 32
  - .args:
      - .offset:         0
        .size:           4
        .value_kind:     by_value
      - .offset:         8
        .size:           8
        .value_kind:     by_value
      - .offset:         16
        .size:           8
        .value_kind:     by_value
      - .offset:         24
        .size:           8
        .value_kind:     by_value
      - .offset:         32
        .size:           8
        .value_kind:     by_value
      - .actual_access:  read_only
        .address_space:  global
        .offset:         40
        .size:           8
        .value_kind:     global_buffer
      - .actual_access:  read_only
        .address_space:  global
        .offset:         48
        .size:           8
        .value_kind:     global_buffer
      - .actual_access:  read_only
        .address_space:  global
        .offset:         56
        .size:           8
        .value_kind:     global_buffer
      - .address_space:  global
        .offset:         64
        .size:           8
        .value_kind:     global_buffer
      - .offset:         72
        .size:           4
        .value_kind:     by_value
      - .offset:         76
        .size:           1
        .value_kind:     by_value
    .group_segment_fixed_size: 0
    .kernarg_segment_align: 8
    .kernarg_segment_size: 80
    .language:       OpenCL C
    .language_version:
      - 2
      - 0
    .max_flat_workgroup_size: 1024
    .name:           _ZN9rocsparseL13ellmvt_kernelILj1024ElaaiiEEv20rocsparse_operation_T0_S2_S2_NS_24const_host_device_scalarIT4_EEPKS2_PKT1_PKT2_PT3_21rocsparse_index_base_b
    .private_segment_fixed_size: 0
    .sgpr_count:     22
    .sgpr_spill_count: 0
    .symbol:         _ZN9rocsparseL13ellmvt_kernelILj1024ElaaiiEEv20rocsparse_operation_T0_S2_S2_NS_24const_host_device_scalarIT4_EEPKS2_PKT1_PKT2_PT3_21rocsparse_index_base_b.kd
    .uniform_work_group_size: 1
    .uses_dynamic_stack: false
    .vgpr_count:     8
    .vgpr_spill_count: 0
    .wavefront_size: 32
  - .args:
      - .offset:         0
        .size:           4
        .value_kind:     by_value
      - .offset:         4
        .size:           4
        .value_kind:     by_value
      - .offset:         8
        .size:           4
        .value_kind:     by_value
      - .offset:         16
        .size:           8
        .value_kind:     by_value
      - .actual_access:  read_only
        .address_space:  global
        .offset:         24
        .size:           8
        .value_kind:     global_buffer
      - .actual_access:  read_only
        .address_space:  global
        .offset:         32
        .size:           8
        .value_kind:     global_buffer
      - .actual_access:  read_only
        .address_space:  global
        .offset:         40
        .size:           8
        .value_kind:     global_buffer
      - .offset:         48
        .size:           8
        .value_kind:     by_value
      - .address_space:  global
        .offset:         56
        .size:           8
        .value_kind:     global_buffer
      - .offset:         64
        .size:           4
        .value_kind:     by_value
      - .offset:         68
        .size:           1
        .value_kind:     by_value
    .group_segment_fixed_size: 0
    .kernarg_segment_align: 8
    .kernarg_segment_size: 72
    .language:       OpenCL C
    .language_version:
      - 2
      - 0
    .max_flat_workgroup_size: 512
    .name:           _ZN9rocsparseL13ellmvn_kernelILj512EiaaffEEvT0_S1_S1_NS_24const_host_device_scalarIT4_EEPKS1_PKT1_PKT2_S4_PT3_21rocsparse_index_base_b
    .private_segment_fixed_size: 0
    .sgpr_count:     26
    .sgpr_spill_count: 0
    .symbol:         _ZN9rocsparseL13ellmvn_kernelILj512EiaaffEEvT0_S1_S1_NS_24const_host_device_scalarIT4_EEPKS1_PKT1_PKT2_S4_PT3_21rocsparse_index_base_b.kd
    .uniform_work_group_size: 1
    .uses_dynamic_stack: false
    .vgpr_count:     10
    .vgpr_spill_count: 0
    .wavefront_size: 32
  - .args:
      - .offset:         0
        .size:           4
        .value_kind:     by_value
      - .offset:         4
        .size:           4
        .value_kind:     by_value
      - .offset:         8
        .size:           4
        .value_kind:     by_value
      - .offset:         12
        .size:           4
        .value_kind:     by_value
      - .offset:         16
        .size:           8
        .value_kind:     by_value
      - .actual_access:  read_only
        .address_space:  global
        .offset:         24
        .size:           8
        .value_kind:     global_buffer
      - .actual_access:  read_only
        .address_space:  global
        .offset:         32
        .size:           8
        .value_kind:     global_buffer
      - .actual_access:  read_only
        .address_space:  global
        .offset:         40
        .size:           8
        .value_kind:     global_buffer
      - .address_space:  global
        .offset:         48
        .size:           8
        .value_kind:     global_buffer
      - .offset:         56
        .size:           4
        .value_kind:     by_value
      - .offset:         60
        .size:           1
        .value_kind:     by_value
    .group_segment_fixed_size: 0
    .kernarg_segment_align: 8
    .kernarg_segment_size: 64
    .language:       OpenCL C
    .language_version:
      - 2
      - 0
    .max_flat_workgroup_size: 1024
    .name:           _ZN9rocsparseL13ellmvt_kernelILj1024EiaaffEEv20rocsparse_operation_T0_S2_S2_NS_24const_host_device_scalarIT4_EEPKS2_PKT1_PKT2_PT3_21rocsparse_index_base_b
    .private_segment_fixed_size: 0
    .sgpr_count:     20
    .sgpr_spill_count: 0
    .symbol:         _ZN9rocsparseL13ellmvt_kernelILj1024EiaaffEEv20rocsparse_operation_T0_S2_S2_NS_24const_host_device_scalarIT4_EEPKS2_PKT1_PKT2_PT3_21rocsparse_index_base_b.kd
    .uniform_work_group_size: 1
    .uses_dynamic_stack: false
    .vgpr_count:     7
    .vgpr_spill_count: 0
    .wavefront_size: 32
  - .args:
      - .offset:         0
        .size:           8
        .value_kind:     by_value
      - .offset:         8
        .size:           8
        .value_kind:     by_value
      - .offset:         16
        .size:           8
        .value_kind:     by_value
      - .offset:         24
        .size:           8
        .value_kind:     by_value
      - .actual_access:  read_only
        .address_space:  global
        .offset:         32
        .size:           8
        .value_kind:     global_buffer
      - .actual_access:  read_only
        .address_space:  global
        .offset:         40
        .size:           8
        .value_kind:     global_buffer
      - .actual_access:  read_only
        .address_space:  global
        .offset:         48
        .size:           8
        .value_kind:     global_buffer
      - .offset:         56
        .size:           8
        .value_kind:     by_value
      - .address_space:  global
        .offset:         64
        .size:           8
        .value_kind:     global_buffer
      - .offset:         72
        .size:           4
        .value_kind:     by_value
      - .offset:         76
        .size:           1
        .value_kind:     by_value
    .group_segment_fixed_size: 0
    .kernarg_segment_align: 8
    .kernarg_segment_size: 80
    .language:       OpenCL C
    .language_version:
      - 2
      - 0
    .max_flat_workgroup_size: 512
    .name:           _ZN9rocsparseL13ellmvn_kernelILj512ElaaffEEvT0_S1_S1_NS_24const_host_device_scalarIT4_EEPKS1_PKT1_PKT2_S4_PT3_21rocsparse_index_base_b
    .private_segment_fixed_size: 0
    .sgpr_count:     26
    .sgpr_spill_count: 0
    .symbol:         _ZN9rocsparseL13ellmvn_kernelILj512ElaaffEEvT0_S1_S1_NS_24const_host_device_scalarIT4_EEPKS1_PKT1_PKT2_S4_PT3_21rocsparse_index_base_b.kd
    .uniform_work_group_size: 1
    .uses_dynamic_stack: false
    .vgpr_count:     11
    .vgpr_spill_count: 0
    .wavefront_size: 32
  - .args:
      - .offset:         0
        .size:           4
        .value_kind:     by_value
      - .offset:         8
        .size:           8
        .value_kind:     by_value
      - .offset:         16
        .size:           8
        .value_kind:     by_value
      - .offset:         24
        .size:           8
        .value_kind:     by_value
      - .offset:         32
        .size:           8
        .value_kind:     by_value
      - .actual_access:  read_only
        .address_space:  global
        .offset:         40
        .size:           8
        .value_kind:     global_buffer
      - .actual_access:  read_only
        .address_space:  global
        .offset:         48
        .size:           8
        .value_kind:     global_buffer
      - .actual_access:  read_only
        .address_space:  global
        .offset:         56
        .size:           8
        .value_kind:     global_buffer
      - .address_space:  global
        .offset:         64
        .size:           8
        .value_kind:     global_buffer
      - .offset:         72
        .size:           4
        .value_kind:     by_value
      - .offset:         76
        .size:           1
        .value_kind:     by_value
    .group_segment_fixed_size: 0
    .kernarg_segment_align: 8
    .kernarg_segment_size: 80
    .language:       OpenCL C
    .language_version:
      - 2
      - 0
    .max_flat_workgroup_size: 1024
    .name:           _ZN9rocsparseL13ellmvt_kernelILj1024ElaaffEEv20rocsparse_operation_T0_S2_S2_NS_24const_host_device_scalarIT4_EEPKS2_PKT1_PKT2_PT3_21rocsparse_index_base_b
    .private_segment_fixed_size: 0
    .sgpr_count:     22
    .sgpr_spill_count: 0
    .symbol:         _ZN9rocsparseL13ellmvt_kernelILj1024ElaaffEEv20rocsparse_operation_T0_S2_S2_NS_24const_host_device_scalarIT4_EEPKS2_PKT1_PKT2_PT3_21rocsparse_index_base_b.kd
    .uniform_work_group_size: 1
    .uses_dynamic_stack: false
    .vgpr_count:     8
    .vgpr_spill_count: 0
    .wavefront_size: 32
  - .args:
      - .offset:         0
        .size:           4
        .value_kind:     by_value
      - .offset:         4
        .size:           4
        .value_kind:     by_value
      - .offset:         8
        .size:           4
        .value_kind:     by_value
      - .offset:         16
        .size:           8
        .value_kind:     by_value
      - .actual_access:  read_only
        .address_space:  global
        .offset:         24
        .size:           8
        .value_kind:     global_buffer
      - .actual_access:  read_only
        .address_space:  global
        .offset:         32
        .size:           8
        .value_kind:     global_buffer
      - .actual_access:  read_only
        .address_space:  global
        .offset:         40
        .size:           8
        .value_kind:     global_buffer
      - .offset:         48
        .size:           8
        .value_kind:     by_value
      - .address_space:  global
        .offset:         56
        .size:           8
        .value_kind:     global_buffer
      - .offset:         64
        .size:           4
        .value_kind:     by_value
      - .offset:         68
        .size:           1
        .value_kind:     by_value
    .group_segment_fixed_size: 0
    .kernarg_segment_align: 8
    .kernarg_segment_size: 72
    .language:       OpenCL C
    .language_version:
      - 2
      - 0
    .max_flat_workgroup_size: 512
    .name:           _ZN9rocsparseL13ellmvn_kernelILj512EiDF16_DF16_ffEEvT0_S1_S1_NS_24const_host_device_scalarIT4_EEPKS1_PKT1_PKT2_S4_PT3_21rocsparse_index_base_b
    .private_segment_fixed_size: 0
    .sgpr_count:     22
    .sgpr_spill_count: 0
    .symbol:         _ZN9rocsparseL13ellmvn_kernelILj512EiDF16_DF16_ffEEvT0_S1_S1_NS_24const_host_device_scalarIT4_EEPKS1_PKT1_PKT2_S4_PT3_21rocsparse_index_base_b.kd
    .uniform_work_group_size: 1
    .uses_dynamic_stack: false
    .vgpr_count:     10
    .vgpr_spill_count: 0
    .wavefront_size: 32
  - .args:
      - .offset:         0
        .size:           4
        .value_kind:     by_value
      - .offset:         4
        .size:           4
        .value_kind:     by_value
      - .offset:         8
        .size:           4
        .value_kind:     by_value
      - .offset:         12
        .size:           4
        .value_kind:     by_value
      - .offset:         16
        .size:           8
        .value_kind:     by_value
      - .actual_access:  read_only
        .address_space:  global
        .offset:         24
        .size:           8
        .value_kind:     global_buffer
      - .actual_access:  read_only
        .address_space:  global
        .offset:         32
        .size:           8
        .value_kind:     global_buffer
      - .actual_access:  read_only
        .address_space:  global
        .offset:         40
        .size:           8
        .value_kind:     global_buffer
      - .address_space:  global
        .offset:         48
        .size:           8
        .value_kind:     global_buffer
      - .offset:         56
        .size:           4
        .value_kind:     by_value
      - .offset:         60
        .size:           1
        .value_kind:     by_value
    .group_segment_fixed_size: 0
    .kernarg_segment_align: 8
    .kernarg_segment_size: 64
    .language:       OpenCL C
    .language_version:
      - 2
      - 0
    .max_flat_workgroup_size: 1024
    .name:           _ZN9rocsparseL13ellmvt_kernelILj1024EiDF16_DF16_ffEEv20rocsparse_operation_T0_S2_S2_NS_24const_host_device_scalarIT4_EEPKS2_PKT1_PKT2_PT3_21rocsparse_index_base_b
    .private_segment_fixed_size: 0
    .sgpr_count:     20
    .sgpr_spill_count: 0
    .symbol:         _ZN9rocsparseL13ellmvt_kernelILj1024EiDF16_DF16_ffEEv20rocsparse_operation_T0_S2_S2_NS_24const_host_device_scalarIT4_EEPKS2_PKT1_PKT2_PT3_21rocsparse_index_base_b.kd
    .uniform_work_group_size: 1
    .uses_dynamic_stack: false
    .vgpr_count:     7
    .vgpr_spill_count: 0
    .wavefront_size: 32
  - .args:
      - .offset:         0
        .size:           8
        .value_kind:     by_value
      - .offset:         8
        .size:           8
        .value_kind:     by_value
      - .offset:         16
        .size:           8
        .value_kind:     by_value
      - .offset:         24
        .size:           8
        .value_kind:     by_value
      - .actual_access:  read_only
        .address_space:  global
        .offset:         32
        .size:           8
        .value_kind:     global_buffer
      - .actual_access:  read_only
        .address_space:  global
        .offset:         40
        .size:           8
        .value_kind:     global_buffer
      - .actual_access:  read_only
        .address_space:  global
        .offset:         48
        .size:           8
        .value_kind:     global_buffer
      - .offset:         56
        .size:           8
        .value_kind:     by_value
      - .address_space:  global
        .offset:         64
        .size:           8
        .value_kind:     global_buffer
      - .offset:         72
        .size:           4
        .value_kind:     by_value
      - .offset:         76
        .size:           1
        .value_kind:     by_value
    .group_segment_fixed_size: 0
    .kernarg_segment_align: 8
    .kernarg_segment_size: 80
    .language:       OpenCL C
    .language_version:
      - 2
      - 0
    .max_flat_workgroup_size: 512
    .name:           _ZN9rocsparseL13ellmvn_kernelILj512ElDF16_DF16_ffEEvT0_S1_S1_NS_24const_host_device_scalarIT4_EEPKS1_PKT1_PKT2_S4_PT3_21rocsparse_index_base_b
    .private_segment_fixed_size: 0
    .sgpr_count:     26
    .sgpr_spill_count: 0
    .symbol:         _ZN9rocsparseL13ellmvn_kernelILj512ElDF16_DF16_ffEEvT0_S1_S1_NS_24const_host_device_scalarIT4_EEPKS1_PKT1_PKT2_S4_PT3_21rocsparse_index_base_b.kd
    .uniform_work_group_size: 1
    .uses_dynamic_stack: false
    .vgpr_count:     11
    .vgpr_spill_count: 0
    .wavefront_size: 32
  - .args:
      - .offset:         0
        .size:           4
        .value_kind:     by_value
      - .offset:         8
        .size:           8
        .value_kind:     by_value
      - .offset:         16
        .size:           8
        .value_kind:     by_value
      - .offset:         24
        .size:           8
        .value_kind:     by_value
      - .offset:         32
        .size:           8
        .value_kind:     by_value
      - .actual_access:  read_only
        .address_space:  global
        .offset:         40
        .size:           8
        .value_kind:     global_buffer
      - .actual_access:  read_only
        .address_space:  global
        .offset:         48
        .size:           8
        .value_kind:     global_buffer
      - .actual_access:  read_only
        .address_space:  global
        .offset:         56
        .size:           8
        .value_kind:     global_buffer
      - .address_space:  global
        .offset:         64
        .size:           8
        .value_kind:     global_buffer
      - .offset:         72
        .size:           4
        .value_kind:     by_value
      - .offset:         76
        .size:           1
        .value_kind:     by_value
    .group_segment_fixed_size: 0
    .kernarg_segment_align: 8
    .kernarg_segment_size: 80
    .language:       OpenCL C
    .language_version:
      - 2
      - 0
    .max_flat_workgroup_size: 1024
    .name:           _ZN9rocsparseL13ellmvt_kernelILj1024ElDF16_DF16_ffEEv20rocsparse_operation_T0_S2_S2_NS_24const_host_device_scalarIT4_EEPKS2_PKT1_PKT2_PT3_21rocsparse_index_base_b
    .private_segment_fixed_size: 0
    .sgpr_count:     22
    .sgpr_spill_count: 0
    .symbol:         _ZN9rocsparseL13ellmvt_kernelILj1024ElDF16_DF16_ffEEv20rocsparse_operation_T0_S2_S2_NS_24const_host_device_scalarIT4_EEPKS2_PKT1_PKT2_PT3_21rocsparse_index_base_b.kd
    .uniform_work_group_size: 1
    .uses_dynamic_stack: false
    .vgpr_count:     8
    .vgpr_spill_count: 0
    .wavefront_size: 32
  - .args:
      - .offset:         0
        .size:           4
        .value_kind:     by_value
      - .offset:         4
        .size:           4
        .value_kind:     by_value
      - .offset:         8
        .size:           4
        .value_kind:     by_value
      - .offset:         16
        .size:           8
        .value_kind:     by_value
      - .actual_access:  read_only
        .address_space:  global
        .offset:         24
        .size:           8
        .value_kind:     global_buffer
      - .actual_access:  read_only
        .address_space:  global
        .offset:         32
        .size:           8
        .value_kind:     global_buffer
      - .actual_access:  read_only
        .address_space:  global
        .offset:         40
        .size:           8
        .value_kind:     global_buffer
      - .offset:         48
        .size:           8
        .value_kind:     by_value
      - .address_space:  global
        .offset:         56
        .size:           8
        .value_kind:     global_buffer
      - .offset:         64
        .size:           4
        .value_kind:     by_value
      - .offset:         68
        .size:           1
        .value_kind:     by_value
    .group_segment_fixed_size: 0
    .kernarg_segment_align: 8
    .kernarg_segment_size: 72
    .language:       OpenCL C
    .language_version:
      - 2
      - 0
    .max_flat_workgroup_size: 512
    .name:           _ZN9rocsparseL13ellmvn_kernelILj512Ei18rocsparse_bfloat16S1_ffEEvT0_S2_S2_NS_24const_host_device_scalarIT4_EEPKS2_PKT1_PKT2_S5_PT3_21rocsparse_index_base_b
    .private_segment_fixed_size: 0
    .sgpr_count:     22
    .sgpr_spill_count: 0
    .symbol:         _ZN9rocsparseL13ellmvn_kernelILj512Ei18rocsparse_bfloat16S1_ffEEvT0_S2_S2_NS_24const_host_device_scalarIT4_EEPKS2_PKT1_PKT2_S5_PT3_21rocsparse_index_base_b.kd
    .uniform_work_group_size: 1
    .uses_dynamic_stack: false
    .vgpr_count:     10
    .vgpr_spill_count: 0
    .wavefront_size: 32
  - .args:
      - .offset:         0
        .size:           4
        .value_kind:     by_value
      - .offset:         4
        .size:           4
        .value_kind:     by_value
      - .offset:         8
        .size:           4
        .value_kind:     by_value
      - .offset:         12
        .size:           4
        .value_kind:     by_value
      - .offset:         16
        .size:           8
        .value_kind:     by_value
      - .actual_access:  read_only
        .address_space:  global
        .offset:         24
        .size:           8
        .value_kind:     global_buffer
      - .actual_access:  read_only
        .address_space:  global
        .offset:         32
        .size:           8
        .value_kind:     global_buffer
      - .actual_access:  read_only
        .address_space:  global
        .offset:         40
        .size:           8
        .value_kind:     global_buffer
      - .address_space:  global
        .offset:         48
        .size:           8
        .value_kind:     global_buffer
      - .offset:         56
        .size:           4
        .value_kind:     by_value
      - .offset:         60
        .size:           1
        .value_kind:     by_value
    .group_segment_fixed_size: 0
    .kernarg_segment_align: 8
    .kernarg_segment_size: 64
    .language:       OpenCL C
    .language_version:
      - 2
      - 0
    .max_flat_workgroup_size: 1024
    .name:           _ZN9rocsparseL13ellmvt_kernelILj1024Ei18rocsparse_bfloat16S1_ffEEv20rocsparse_operation_T0_S3_S3_NS_24const_host_device_scalarIT4_EEPKS3_PKT1_PKT2_PT3_21rocsparse_index_base_b
    .private_segment_fixed_size: 0
    .sgpr_count:     20
    .sgpr_spill_count: 0
    .symbol:         _ZN9rocsparseL13ellmvt_kernelILj1024Ei18rocsparse_bfloat16S1_ffEEv20rocsparse_operation_T0_S3_S3_NS_24const_host_device_scalarIT4_EEPKS3_PKT1_PKT2_PT3_21rocsparse_index_base_b.kd
    .uniform_work_group_size: 1
    .uses_dynamic_stack: false
    .vgpr_count:     7
    .vgpr_spill_count: 0
    .wavefront_size: 32
  - .args:
      - .offset:         0
        .size:           8
        .value_kind:     by_value
      - .offset:         8
        .size:           8
        .value_kind:     by_value
      - .offset:         16
        .size:           8
        .value_kind:     by_value
      - .offset:         24
        .size:           8
        .value_kind:     by_value
      - .actual_access:  read_only
        .address_space:  global
        .offset:         32
        .size:           8
        .value_kind:     global_buffer
      - .actual_access:  read_only
        .address_space:  global
        .offset:         40
        .size:           8
        .value_kind:     global_buffer
      - .actual_access:  read_only
        .address_space:  global
        .offset:         48
        .size:           8
        .value_kind:     global_buffer
      - .offset:         56
        .size:           8
        .value_kind:     by_value
      - .address_space:  global
        .offset:         64
        .size:           8
        .value_kind:     global_buffer
      - .offset:         72
        .size:           4
        .value_kind:     by_value
      - .offset:         76
        .size:           1
        .value_kind:     by_value
    .group_segment_fixed_size: 0
    .kernarg_segment_align: 8
    .kernarg_segment_size: 80
    .language:       OpenCL C
    .language_version:
      - 2
      - 0
    .max_flat_workgroup_size: 512
    .name:           _ZN9rocsparseL13ellmvn_kernelILj512El18rocsparse_bfloat16S1_ffEEvT0_S2_S2_NS_24const_host_device_scalarIT4_EEPKS2_PKT1_PKT2_S5_PT3_21rocsparse_index_base_b
    .private_segment_fixed_size: 0
    .sgpr_count:     26
    .sgpr_spill_count: 0
    .symbol:         _ZN9rocsparseL13ellmvn_kernelILj512El18rocsparse_bfloat16S1_ffEEvT0_S2_S2_NS_24const_host_device_scalarIT4_EEPKS2_PKT1_PKT2_S5_PT3_21rocsparse_index_base_b.kd
    .uniform_work_group_size: 1
    .uses_dynamic_stack: false
    .vgpr_count:     11
    .vgpr_spill_count: 0
    .wavefront_size: 32
  - .args:
      - .offset:         0
        .size:           4
        .value_kind:     by_value
      - .offset:         8
        .size:           8
        .value_kind:     by_value
      - .offset:         16
        .size:           8
        .value_kind:     by_value
      - .offset:         24
        .size:           8
        .value_kind:     by_value
      - .offset:         32
        .size:           8
        .value_kind:     by_value
      - .actual_access:  read_only
        .address_space:  global
        .offset:         40
        .size:           8
        .value_kind:     global_buffer
      - .actual_access:  read_only
        .address_space:  global
        .offset:         48
        .size:           8
        .value_kind:     global_buffer
      - .actual_access:  read_only
        .address_space:  global
        .offset:         56
        .size:           8
        .value_kind:     global_buffer
      - .address_space:  global
        .offset:         64
        .size:           8
        .value_kind:     global_buffer
      - .offset:         72
        .size:           4
        .value_kind:     by_value
      - .offset:         76
        .size:           1
        .value_kind:     by_value
    .group_segment_fixed_size: 0
    .kernarg_segment_align: 8
    .kernarg_segment_size: 80
    .language:       OpenCL C
    .language_version:
      - 2
      - 0
    .max_flat_workgroup_size: 1024
    .name:           _ZN9rocsparseL13ellmvt_kernelILj1024El18rocsparse_bfloat16S1_ffEEv20rocsparse_operation_T0_S3_S3_NS_24const_host_device_scalarIT4_EEPKS3_PKT1_PKT2_PT3_21rocsparse_index_base_b
    .private_segment_fixed_size: 0
    .sgpr_count:     22
    .sgpr_spill_count: 0
    .symbol:         _ZN9rocsparseL13ellmvt_kernelILj1024El18rocsparse_bfloat16S1_ffEEv20rocsparse_operation_T0_S3_S3_NS_24const_host_device_scalarIT4_EEPKS3_PKT1_PKT2_PT3_21rocsparse_index_base_b.kd
    .uniform_work_group_size: 1
    .uses_dynamic_stack: false
    .vgpr_count:     8
    .vgpr_spill_count: 0
    .wavefront_size: 32
  - .args:
      - .offset:         0
        .size:           4
        .value_kind:     by_value
      - .offset:         4
        .size:           4
        .value_kind:     by_value
      - .offset:         8
        .size:           4
        .value_kind:     by_value
      - .offset:         16
        .size:           8
        .value_kind:     by_value
      - .actual_access:  read_only
        .address_space:  global
        .offset:         24
        .size:           8
        .value_kind:     global_buffer
      - .actual_access:  read_only
        .address_space:  global
        .offset:         32
        .size:           8
        .value_kind:     global_buffer
      - .actual_access:  read_only
        .address_space:  global
        .offset:         40
        .size:           8
        .value_kind:     global_buffer
      - .offset:         48
        .size:           8
        .value_kind:     by_value
      - .address_space:  global
        .offset:         56
        .size:           8
        .value_kind:     global_buffer
      - .offset:         64
        .size:           4
        .value_kind:     by_value
      - .offset:         68
        .size:           1
        .value_kind:     by_value
    .group_segment_fixed_size: 0
    .kernarg_segment_align: 8
    .kernarg_segment_size: 72
    .language:       OpenCL C
    .language_version:
      - 2
      - 0
    .max_flat_workgroup_size: 512
    .name:           _ZN9rocsparseL13ellmvn_kernelILj512Eif21rocsparse_complex_numIfES2_S2_EEvT0_S3_S3_NS_24const_host_device_scalarIT4_EEPKS3_PKT1_PKT2_S6_PT3_21rocsparse_index_base_b
    .private_segment_fixed_size: 0
    .sgpr_count:     20
    .sgpr_spill_count: 0
    .symbol:         _ZN9rocsparseL13ellmvn_kernelILj512Eif21rocsparse_complex_numIfES2_S2_EEvT0_S3_S3_NS_24const_host_device_scalarIT4_EEPKS3_PKT1_PKT2_S6_PT3_21rocsparse_index_base_b.kd
    .uniform_work_group_size: 1
    .uses_dynamic_stack: false
    .vgpr_count:     18
    .vgpr_spill_count: 0
    .wavefront_size: 32
  - .args:
      - .offset:         0
        .size:           4
        .value_kind:     by_value
      - .offset:         4
        .size:           4
        .value_kind:     by_value
      - .offset:         8
        .size:           4
        .value_kind:     by_value
      - .offset:         12
        .size:           4
        .value_kind:     by_value
      - .offset:         16
        .size:           8
        .value_kind:     by_value
      - .actual_access:  read_only
        .address_space:  global
        .offset:         24
        .size:           8
        .value_kind:     global_buffer
      - .actual_access:  read_only
        .address_space:  global
        .offset:         32
        .size:           8
        .value_kind:     global_buffer
      - .actual_access:  read_only
        .address_space:  global
        .offset:         40
        .size:           8
        .value_kind:     global_buffer
      - .address_space:  global
        .offset:         48
        .size:           8
        .value_kind:     global_buffer
      - .offset:         56
        .size:           4
        .value_kind:     by_value
      - .offset:         60
        .size:           1
        .value_kind:     by_value
    .group_segment_fixed_size: 0
    .kernarg_segment_align: 8
    .kernarg_segment_size: 64
    .language:       OpenCL C
    .language_version:
      - 2
      - 0
    .max_flat_workgroup_size: 1024
    .name:           _ZN9rocsparseL13ellmvt_kernelILj1024Eif21rocsparse_complex_numIfES2_S2_EEv20rocsparse_operation_T0_S4_S4_NS_24const_host_device_scalarIT4_EEPKS4_PKT1_PKT2_PT3_21rocsparse_index_base_b
    .private_segment_fixed_size: 0
    .sgpr_count:     20
    .sgpr_spill_count: 0
    .symbol:         _ZN9rocsparseL13ellmvt_kernelILj1024Eif21rocsparse_complex_numIfES2_S2_EEv20rocsparse_operation_T0_S4_S4_NS_24const_host_device_scalarIT4_EEPKS4_PKT1_PKT2_PT3_21rocsparse_index_base_b.kd
    .uniform_work_group_size: 1
    .uses_dynamic_stack: false
    .vgpr_count:     11
    .vgpr_spill_count: 0
    .wavefront_size: 32
  - .args:
      - .offset:         0
        .size:           8
        .value_kind:     by_value
      - .offset:         8
        .size:           8
        .value_kind:     by_value
      - .offset:         16
        .size:           8
        .value_kind:     by_value
      - .offset:         24
        .size:           8
        .value_kind:     by_value
      - .actual_access:  read_only
        .address_space:  global
        .offset:         32
        .size:           8
        .value_kind:     global_buffer
      - .actual_access:  read_only
        .address_space:  global
        .offset:         40
        .size:           8
        .value_kind:     global_buffer
      - .actual_access:  read_only
        .address_space:  global
        .offset:         48
        .size:           8
        .value_kind:     global_buffer
      - .offset:         56
        .size:           8
        .value_kind:     by_value
      - .address_space:  global
        .offset:         64
        .size:           8
        .value_kind:     global_buffer
      - .offset:         72
        .size:           4
        .value_kind:     by_value
      - .offset:         76
        .size:           1
        .value_kind:     by_value
    .group_segment_fixed_size: 0
    .kernarg_segment_align: 8
    .kernarg_segment_size: 80
    .language:       OpenCL C
    .language_version:
      - 2
      - 0
    .max_flat_workgroup_size: 512
    .name:           _ZN9rocsparseL13ellmvn_kernelILj512Elf21rocsparse_complex_numIfES2_S2_EEvT0_S3_S3_NS_24const_host_device_scalarIT4_EEPKS3_PKT1_PKT2_S6_PT3_21rocsparse_index_base_b
    .private_segment_fixed_size: 0
    .sgpr_count:     22
    .sgpr_spill_count: 0
    .symbol:         _ZN9rocsparseL13ellmvn_kernelILj512Elf21rocsparse_complex_numIfES2_S2_EEvT0_S3_S3_NS_24const_host_device_scalarIT4_EEPKS3_PKT1_PKT2_S6_PT3_21rocsparse_index_base_b.kd
    .uniform_work_group_size: 1
    .uses_dynamic_stack: false
    .vgpr_count:     20
    .vgpr_spill_count: 0
    .wavefront_size: 32
  - .args:
      - .offset:         0
        .size:           4
        .value_kind:     by_value
      - .offset:         8
        .size:           8
        .value_kind:     by_value
      - .offset:         16
        .size:           8
        .value_kind:     by_value
      - .offset:         24
        .size:           8
        .value_kind:     by_value
      - .offset:         32
        .size:           8
        .value_kind:     by_value
      - .actual_access:  read_only
        .address_space:  global
        .offset:         40
        .size:           8
        .value_kind:     global_buffer
      - .actual_access:  read_only
        .address_space:  global
        .offset:         48
        .size:           8
        .value_kind:     global_buffer
      - .actual_access:  read_only
        .address_space:  global
        .offset:         56
        .size:           8
        .value_kind:     global_buffer
      - .address_space:  global
        .offset:         64
        .size:           8
        .value_kind:     global_buffer
      - .offset:         72
        .size:           4
        .value_kind:     by_value
      - .offset:         76
        .size:           1
        .value_kind:     by_value
    .group_segment_fixed_size: 0
    .kernarg_segment_align: 8
    .kernarg_segment_size: 80
    .language:       OpenCL C
    .language_version:
      - 2
      - 0
    .max_flat_workgroup_size: 1024
    .name:           _ZN9rocsparseL13ellmvt_kernelILj1024Elf21rocsparse_complex_numIfES2_S2_EEv20rocsparse_operation_T0_S4_S4_NS_24const_host_device_scalarIT4_EEPKS4_PKT1_PKT2_PT3_21rocsparse_index_base_b
    .private_segment_fixed_size: 0
    .sgpr_count:     24
    .sgpr_spill_count: 0
    .symbol:         _ZN9rocsparseL13ellmvt_kernelILj1024Elf21rocsparse_complex_numIfES2_S2_EEv20rocsparse_operation_T0_S4_S4_NS_24const_host_device_scalarIT4_EEPKS4_PKT1_PKT2_PT3_21rocsparse_index_base_b.kd
    .uniform_work_group_size: 1
    .uses_dynamic_stack: false
    .vgpr_count:     12
    .vgpr_spill_count: 0
    .wavefront_size: 32
  - .args:
      - .offset:         0
        .size:           4
        .value_kind:     by_value
      - .offset:         4
        .size:           4
        .value_kind:     by_value
      - .offset:         8
        .size:           4
        .value_kind:     by_value
      - .offset:         16
        .size:           16
        .value_kind:     by_value
      - .actual_access:  read_only
        .address_space:  global
        .offset:         32
        .size:           8
        .value_kind:     global_buffer
      - .actual_access:  read_only
        .address_space:  global
        .offset:         40
        .size:           8
        .value_kind:     global_buffer
      - .actual_access:  read_only
        .address_space:  global
        .offset:         48
        .size:           8
        .value_kind:     global_buffer
      - .offset:         56
        .size:           16
        .value_kind:     by_value
      - .address_space:  global
        .offset:         72
        .size:           8
        .value_kind:     global_buffer
      - .offset:         80
        .size:           4
        .value_kind:     by_value
      - .offset:         84
        .size:           1
        .value_kind:     by_value
    .group_segment_fixed_size: 0
    .kernarg_segment_align: 8
    .kernarg_segment_size: 88
    .language:       OpenCL C
    .language_version:
      - 2
      - 0
    .max_flat_workgroup_size: 512
    .name:           _ZN9rocsparseL13ellmvn_kernelILj512Eid21rocsparse_complex_numIdES2_S2_EEvT0_S3_S3_NS_24const_host_device_scalarIT4_EEPKS3_PKT1_PKT2_S6_PT3_21rocsparse_index_base_b
    .private_segment_fixed_size: 0
    .sgpr_count:     18
    .sgpr_spill_count: 0
    .symbol:         _ZN9rocsparseL13ellmvn_kernelILj512Eid21rocsparse_complex_numIdES2_S2_EEvT0_S3_S3_NS_24const_host_device_scalarIT4_EEPKS3_PKT1_PKT2_S6_PT3_21rocsparse_index_base_b.kd
    .uniform_work_group_size: 1
    .uses_dynamic_stack: false
    .vgpr_count:     24
    .vgpr_spill_count: 0
    .wavefront_size: 32
  - .args:
      - .offset:         0
        .size:           4
        .value_kind:     by_value
      - .offset:         4
        .size:           4
        .value_kind:     by_value
      - .offset:         8
        .size:           4
        .value_kind:     by_value
      - .offset:         12
        .size:           4
        .value_kind:     by_value
      - .offset:         16
        .size:           16
        .value_kind:     by_value
      - .actual_access:  read_only
        .address_space:  global
        .offset:         32
        .size:           8
        .value_kind:     global_buffer
      - .actual_access:  read_only
        .address_space:  global
        .offset:         40
        .size:           8
        .value_kind:     global_buffer
      - .actual_access:  read_only
        .address_space:  global
        .offset:         48
        .size:           8
        .value_kind:     global_buffer
      - .address_space:  global
        .offset:         56
        .size:           8
        .value_kind:     global_buffer
      - .offset:         64
        .size:           4
        .value_kind:     by_value
      - .offset:         68
        .size:           1
        .value_kind:     by_value
    .group_segment_fixed_size: 0
    .kernarg_segment_align: 8
    .kernarg_segment_size: 72
    .language:       OpenCL C
    .language_version:
      - 2
      - 0
    .max_flat_workgroup_size: 1024
    .name:           _ZN9rocsparseL13ellmvt_kernelILj1024Eid21rocsparse_complex_numIdES2_S2_EEv20rocsparse_operation_T0_S4_S4_NS_24const_host_device_scalarIT4_EEPKS4_PKT1_PKT2_PT3_21rocsparse_index_base_b
    .private_segment_fixed_size: 0
    .sgpr_count:     20
    .sgpr_spill_count: 0
    .symbol:         _ZN9rocsparseL13ellmvt_kernelILj1024Eid21rocsparse_complex_numIdES2_S2_EEv20rocsparse_operation_T0_S4_S4_NS_24const_host_device_scalarIT4_EEPKS4_PKT1_PKT2_PT3_21rocsparse_index_base_b.kd
    .uniform_work_group_size: 1
    .uses_dynamic_stack: false
    .vgpr_count:     20
    .vgpr_spill_count: 0
    .wavefront_size: 32
  - .args:
      - .offset:         0
        .size:           8
        .value_kind:     by_value
      - .offset:         8
        .size:           8
        .value_kind:     by_value
      - .offset:         16
        .size:           8
        .value_kind:     by_value
      - .offset:         24
        .size:           16
        .value_kind:     by_value
      - .actual_access:  read_only
        .address_space:  global
        .offset:         40
        .size:           8
        .value_kind:     global_buffer
      - .actual_access:  read_only
        .address_space:  global
        .offset:         48
        .size:           8
        .value_kind:     global_buffer
      - .actual_access:  read_only
        .address_space:  global
        .offset:         56
        .size:           8
        .value_kind:     global_buffer
      - .offset:         64
        .size:           16
        .value_kind:     by_value
      - .address_space:  global
        .offset:         80
        .size:           8
        .value_kind:     global_buffer
      - .offset:         88
        .size:           4
        .value_kind:     by_value
      - .offset:         92
        .size:           1
        .value_kind:     by_value
    .group_segment_fixed_size: 0
    .kernarg_segment_align: 8
    .kernarg_segment_size: 96
    .language:       OpenCL C
    .language_version:
      - 2
      - 0
    .max_flat_workgroup_size: 512
    .name:           _ZN9rocsparseL13ellmvn_kernelILj512Eld21rocsparse_complex_numIdES2_S2_EEvT0_S3_S3_NS_24const_host_device_scalarIT4_EEPKS3_PKT1_PKT2_S6_PT3_21rocsparse_index_base_b
    .private_segment_fixed_size: 0
    .sgpr_count:     22
    .sgpr_spill_count: 0
    .symbol:         _ZN9rocsparseL13ellmvn_kernelILj512Eld21rocsparse_complex_numIdES2_S2_EEvT0_S3_S3_NS_24const_host_device_scalarIT4_EEPKS3_PKT1_PKT2_S6_PT3_21rocsparse_index_base_b.kd
    .uniform_work_group_size: 1
    .uses_dynamic_stack: false
    .vgpr_count:     26
    .vgpr_spill_count: 0
    .wavefront_size: 32
  - .args:
      - .offset:         0
        .size:           4
        .value_kind:     by_value
      - .offset:         8
        .size:           8
        .value_kind:     by_value
      - .offset:         16
        .size:           8
        .value_kind:     by_value
      - .offset:         24
        .size:           8
        .value_kind:     by_value
      - .offset:         32
        .size:           16
        .value_kind:     by_value
      - .actual_access:  read_only
        .address_space:  global
        .offset:         48
        .size:           8
        .value_kind:     global_buffer
      - .actual_access:  read_only
        .address_space:  global
        .offset:         56
        .size:           8
        .value_kind:     global_buffer
      - .actual_access:  read_only
        .address_space:  global
        .offset:         64
        .size:           8
        .value_kind:     global_buffer
      - .address_space:  global
        .offset:         72
        .size:           8
        .value_kind:     global_buffer
      - .offset:         80
        .size:           4
        .value_kind:     by_value
      - .offset:         84
        .size:           1
        .value_kind:     by_value
    .group_segment_fixed_size: 0
    .kernarg_segment_align: 8
    .kernarg_segment_size: 88
    .language:       OpenCL C
    .language_version:
      - 2
      - 0
    .max_flat_workgroup_size: 1024
    .name:           _ZN9rocsparseL13ellmvt_kernelILj1024Eld21rocsparse_complex_numIdES2_S2_EEv20rocsparse_operation_T0_S4_S4_NS_24const_host_device_scalarIT4_EEPKS4_PKT1_PKT2_PT3_21rocsparse_index_base_b
    .private_segment_fixed_size: 0
    .sgpr_count:     24
    .sgpr_spill_count: 0
    .symbol:         _ZN9rocsparseL13ellmvt_kernelILj1024Eld21rocsparse_complex_numIdES2_S2_EEv20rocsparse_operation_T0_S4_S4_NS_24const_host_device_scalarIT4_EEPKS4_PKT1_PKT2_PT3_21rocsparse_index_base_b.kd
    .uniform_work_group_size: 1
    .uses_dynamic_stack: false
    .vgpr_count:     16
    .vgpr_spill_count: 0
    .wavefront_size: 32
  - .args:
      - .offset:         0
        .size:           4
        .value_kind:     by_value
      - .offset:         4
        .size:           4
        .value_kind:     by_value
      - .offset:         8
        .size:           4
        .value_kind:     by_value
      - .offset:         16
        .size:           8
        .value_kind:     by_value
      - .actual_access:  read_only
        .address_space:  global
        .offset:         24
        .size:           8
        .value_kind:     global_buffer
      - .actual_access:  read_only
        .address_space:  global
        .offset:         32
        .size:           8
        .value_kind:     global_buffer
      - .actual_access:  read_only
        .address_space:  global
        .offset:         40
        .size:           8
        .value_kind:     global_buffer
      - .offset:         48
        .size:           8
        .value_kind:     by_value
      - .address_space:  global
        .offset:         56
        .size:           8
        .value_kind:     global_buffer
      - .offset:         64
        .size:           4
        .value_kind:     by_value
      - .offset:         68
        .size:           1
        .value_kind:     by_value
    .group_segment_fixed_size: 0
    .kernarg_segment_align: 8
    .kernarg_segment_size: 72
    .language:       OpenCL C
    .language_version:
      - 2
      - 0
    .max_flat_workgroup_size: 512
    .name:           _ZN9rocsparseL13ellmvn_kernelILj512EifdddEEvT0_S1_S1_NS_24const_host_device_scalarIT4_EEPKS1_PKT1_PKT2_S4_PT3_21rocsparse_index_base_b
    .private_segment_fixed_size: 0
    .sgpr_count:     18
    .sgpr_spill_count: 0
    .symbol:         _ZN9rocsparseL13ellmvn_kernelILj512EifdddEEvT0_S1_S1_NS_24const_host_device_scalarIT4_EEPKS1_PKT1_PKT2_S4_PT3_21rocsparse_index_base_b.kd
    .uniform_work_group_size: 1
    .uses_dynamic_stack: false
    .vgpr_count:     16
    .vgpr_spill_count: 0
    .wavefront_size: 32
  - .args:
      - .offset:         0
        .size:           4
        .value_kind:     by_value
      - .offset:         4
        .size:           4
        .value_kind:     by_value
      - .offset:         8
        .size:           4
        .value_kind:     by_value
      - .offset:         12
        .size:           4
        .value_kind:     by_value
      - .offset:         16
        .size:           8
        .value_kind:     by_value
      - .actual_access:  read_only
        .address_space:  global
        .offset:         24
        .size:           8
        .value_kind:     global_buffer
      - .actual_access:  read_only
        .address_space:  global
        .offset:         32
        .size:           8
        .value_kind:     global_buffer
      - .actual_access:  read_only
        .address_space:  global
        .offset:         40
        .size:           8
        .value_kind:     global_buffer
      - .address_space:  global
        .offset:         48
        .size:           8
        .value_kind:     global_buffer
      - .offset:         56
        .size:           4
        .value_kind:     by_value
      - .offset:         60
        .size:           1
        .value_kind:     by_value
    .group_segment_fixed_size: 0
    .kernarg_segment_align: 8
    .kernarg_segment_size: 64
    .language:       OpenCL C
    .language_version:
      - 2
      - 0
    .max_flat_workgroup_size: 1024
    .name:           _ZN9rocsparseL13ellmvt_kernelILj1024EifdddEEv20rocsparse_operation_T0_S2_S2_NS_24const_host_device_scalarIT4_EEPKS2_PKT1_PKT2_PT3_21rocsparse_index_base_b
    .private_segment_fixed_size: 0
    .sgpr_count:     17
    .sgpr_spill_count: 0
    .symbol:         _ZN9rocsparseL13ellmvt_kernelILj1024EifdddEEv20rocsparse_operation_T0_S2_S2_NS_24const_host_device_scalarIT4_EEPKS2_PKT1_PKT2_PT3_21rocsparse_index_base_b.kd
    .uniform_work_group_size: 1
    .uses_dynamic_stack: false
    .vgpr_count:     8
    .vgpr_spill_count: 0
    .wavefront_size: 32
  - .args:
      - .offset:         0
        .size:           8
        .value_kind:     by_value
      - .offset:         8
        .size:           8
        .value_kind:     by_value
      - .offset:         16
        .size:           8
        .value_kind:     by_value
      - .offset:         24
        .size:           8
        .value_kind:     by_value
      - .actual_access:  read_only
        .address_space:  global
        .offset:         32
        .size:           8
        .value_kind:     global_buffer
      - .actual_access:  read_only
        .address_space:  global
        .offset:         40
        .size:           8
        .value_kind:     global_buffer
      - .actual_access:  read_only
        .address_space:  global
        .offset:         48
        .size:           8
        .value_kind:     global_buffer
      - .offset:         56
        .size:           8
        .value_kind:     by_value
      - .address_space:  global
        .offset:         64
        .size:           8
        .value_kind:     global_buffer
      - .offset:         72
        .size:           4
        .value_kind:     by_value
      - .offset:         76
        .size:           1
        .value_kind:     by_value
    .group_segment_fixed_size: 0
    .kernarg_segment_align: 8
    .kernarg_segment_size: 80
    .language:       OpenCL C
    .language_version:
      - 2
      - 0
    .max_flat_workgroup_size: 512
    .name:           _ZN9rocsparseL13ellmvn_kernelILj512ElfdddEEvT0_S1_S1_NS_24const_host_device_scalarIT4_EEPKS1_PKT1_PKT2_S4_PT3_21rocsparse_index_base_b
    .private_segment_fixed_size: 0
    .sgpr_count:     22
    .sgpr_spill_count: 0
    .symbol:         _ZN9rocsparseL13ellmvn_kernelILj512ElfdddEEvT0_S1_S1_NS_24const_host_device_scalarIT4_EEPKS1_PKT1_PKT2_S4_PT3_21rocsparse_index_base_b.kd
    .uniform_work_group_size: 1
    .uses_dynamic_stack: false
    .vgpr_count:     16
    .vgpr_spill_count: 0
    .wavefront_size: 32
  - .args:
      - .offset:         0
        .size:           4
        .value_kind:     by_value
      - .offset:         8
        .size:           8
        .value_kind:     by_value
      - .offset:         16
        .size:           8
        .value_kind:     by_value
      - .offset:         24
        .size:           8
        .value_kind:     by_value
      - .offset:         32
        .size:           8
        .value_kind:     by_value
      - .actual_access:  read_only
        .address_space:  global
        .offset:         40
        .size:           8
        .value_kind:     global_buffer
      - .actual_access:  read_only
        .address_space:  global
        .offset:         48
        .size:           8
        .value_kind:     global_buffer
      - .actual_access:  read_only
        .address_space:  global
        .offset:         56
        .size:           8
        .value_kind:     global_buffer
      - .address_space:  global
        .offset:         64
        .size:           8
        .value_kind:     global_buffer
      - .offset:         72
        .size:           4
        .value_kind:     by_value
      - .offset:         76
        .size:           1
        .value_kind:     by_value
    .group_segment_fixed_size: 0
    .kernarg_segment_align: 8
    .kernarg_segment_size: 80
    .language:       OpenCL C
    .language_version:
      - 2
      - 0
    .max_flat_workgroup_size: 1024
    .name:           _ZN9rocsparseL13ellmvt_kernelILj1024ElfdddEEv20rocsparse_operation_T0_S2_S2_NS_24const_host_device_scalarIT4_EEPKS2_PKT1_PKT2_PT3_21rocsparse_index_base_b
    .private_segment_fixed_size: 0
    .sgpr_count:     22
    .sgpr_spill_count: 0
    .symbol:         _ZN9rocsparseL13ellmvt_kernelILj1024ElfdddEEv20rocsparse_operation_T0_S2_S2_NS_24const_host_device_scalarIT4_EEPKS2_PKT1_PKT2_PT3_21rocsparse_index_base_b.kd
    .uniform_work_group_size: 1
    .uses_dynamic_stack: false
    .vgpr_count:     10
    .vgpr_spill_count: 0
    .wavefront_size: 32
  - .args:
      - .offset:         0
        .size:           4
        .value_kind:     by_value
      - .offset:         4
        .size:           4
        .value_kind:     by_value
      - .offset:         8
        .size:           4
        .value_kind:     by_value
      - .offset:         16
        .size:           16
        .value_kind:     by_value
      - .actual_access:  read_only
        .address_space:  global
        .offset:         32
        .size:           8
        .value_kind:     global_buffer
      - .actual_access:  read_only
        .address_space:  global
        .offset:         40
        .size:           8
        .value_kind:     global_buffer
      - .actual_access:  read_only
        .address_space:  global
        .offset:         48
        .size:           8
        .value_kind:     global_buffer
      - .offset:         56
        .size:           16
        .value_kind:     by_value
      - .address_space:  global
        .offset:         72
        .size:           8
        .value_kind:     global_buffer
      - .offset:         80
        .size:           4
        .value_kind:     by_value
      - .offset:         84
        .size:           1
        .value_kind:     by_value
    .group_segment_fixed_size: 0
    .kernarg_segment_align: 8
    .kernarg_segment_size: 88
    .language:       OpenCL C
    .language_version:
      - 2
      - 0
    .max_flat_workgroup_size: 512
    .name:           _ZN9rocsparseL13ellmvn_kernelILj512Ei21rocsparse_complex_numIfES1_IdES3_S3_EEvT0_S4_S4_NS_24const_host_device_scalarIT4_EEPKS4_PKT1_PKT2_S7_PT3_21rocsparse_index_base_b
    .private_segment_fixed_size: 0
    .sgpr_count:     18
    .sgpr_spill_count: 0
    .symbol:         _ZN9rocsparseL13ellmvn_kernelILj512Ei21rocsparse_complex_numIfES1_IdES3_S3_EEvT0_S4_S4_NS_24const_host_device_scalarIT4_EEPKS4_PKT1_PKT2_S7_PT3_21rocsparse_index_base_b.kd
    .uniform_work_group_size: 1
    .uses_dynamic_stack: false
    .vgpr_count:     26
    .vgpr_spill_count: 0
    .wavefront_size: 32
  - .args:
      - .offset:         0
        .size:           4
        .value_kind:     by_value
      - .offset:         4
        .size:           4
        .value_kind:     by_value
      - .offset:         8
        .size:           4
        .value_kind:     by_value
      - .offset:         12
        .size:           4
        .value_kind:     by_value
      - .offset:         16
        .size:           16
        .value_kind:     by_value
      - .actual_access:  read_only
        .address_space:  global
        .offset:         32
        .size:           8
        .value_kind:     global_buffer
      - .actual_access:  read_only
        .address_space:  global
        .offset:         40
        .size:           8
        .value_kind:     global_buffer
      - .actual_access:  read_only
        .address_space:  global
        .offset:         48
        .size:           8
        .value_kind:     global_buffer
      - .address_space:  global
        .offset:         56
        .size:           8
        .value_kind:     global_buffer
      - .offset:         64
        .size:           4
        .value_kind:     by_value
      - .offset:         68
        .size:           1
        .value_kind:     by_value
    .group_segment_fixed_size: 0
    .kernarg_segment_align: 8
    .kernarg_segment_size: 72
    .language:       OpenCL C
    .language_version:
      - 2
      - 0
    .max_flat_workgroup_size: 1024
    .name:           _ZN9rocsparseL13ellmvt_kernelILj1024Ei21rocsparse_complex_numIfES1_IdES3_S3_EEv20rocsparse_operation_T0_S5_S5_NS_24const_host_device_scalarIT4_EEPKS5_PKT1_PKT2_PT3_21rocsparse_index_base_b
    .private_segment_fixed_size: 0
    .sgpr_count:     20
    .sgpr_spill_count: 0
    .symbol:         _ZN9rocsparseL13ellmvt_kernelILj1024Ei21rocsparse_complex_numIfES1_IdES3_S3_EEv20rocsparse_operation_T0_S5_S5_NS_24const_host_device_scalarIT4_EEPKS5_PKT1_PKT2_PT3_21rocsparse_index_base_b.kd
    .uniform_work_group_size: 1
    .uses_dynamic_stack: false
    .vgpr_count:     16
    .vgpr_spill_count: 0
    .wavefront_size: 32
  - .args:
      - .offset:         0
        .size:           8
        .value_kind:     by_value
      - .offset:         8
        .size:           8
        .value_kind:     by_value
      - .offset:         16
        .size:           8
        .value_kind:     by_value
      - .offset:         24
        .size:           16
        .value_kind:     by_value
      - .actual_access:  read_only
        .address_space:  global
        .offset:         40
        .size:           8
        .value_kind:     global_buffer
      - .actual_access:  read_only
        .address_space:  global
        .offset:         48
        .size:           8
        .value_kind:     global_buffer
      - .actual_access:  read_only
        .address_space:  global
        .offset:         56
        .size:           8
        .value_kind:     global_buffer
      - .offset:         64
        .size:           16
        .value_kind:     by_value
      - .address_space:  global
        .offset:         80
        .size:           8
        .value_kind:     global_buffer
      - .offset:         88
        .size:           4
        .value_kind:     by_value
      - .offset:         92
        .size:           1
        .value_kind:     by_value
    .group_segment_fixed_size: 0
    .kernarg_segment_align: 8
    .kernarg_segment_size: 96
    .language:       OpenCL C
    .language_version:
      - 2
      - 0
    .max_flat_workgroup_size: 512
    .name:           _ZN9rocsparseL13ellmvn_kernelILj512El21rocsparse_complex_numIfES1_IdES3_S3_EEvT0_S4_S4_NS_24const_host_device_scalarIT4_EEPKS4_PKT1_PKT2_S7_PT3_21rocsparse_index_base_b
    .private_segment_fixed_size: 0
    .sgpr_count:     22
    .sgpr_spill_count: 0
    .symbol:         _ZN9rocsparseL13ellmvn_kernelILj512El21rocsparse_complex_numIfES1_IdES3_S3_EEvT0_S4_S4_NS_24const_host_device_scalarIT4_EEPKS4_PKT1_PKT2_S7_PT3_21rocsparse_index_base_b.kd
    .uniform_work_group_size: 1
    .uses_dynamic_stack: false
    .vgpr_count:     24
    .vgpr_spill_count: 0
    .wavefront_size: 32
  - .args:
      - .offset:         0
        .size:           4
        .value_kind:     by_value
      - .offset:         8
        .size:           8
        .value_kind:     by_value
      - .offset:         16
        .size:           8
        .value_kind:     by_value
      - .offset:         24
        .size:           8
        .value_kind:     by_value
      - .offset:         32
        .size:           16
        .value_kind:     by_value
      - .actual_access:  read_only
        .address_space:  global
        .offset:         48
        .size:           8
        .value_kind:     global_buffer
      - .actual_access:  read_only
        .address_space:  global
        .offset:         56
        .size:           8
        .value_kind:     global_buffer
      - .actual_access:  read_only
        .address_space:  global
        .offset:         64
        .size:           8
        .value_kind:     global_buffer
      - .address_space:  global
        .offset:         72
        .size:           8
        .value_kind:     global_buffer
      - .offset:         80
        .size:           4
        .value_kind:     by_value
      - .offset:         84
        .size:           1
        .value_kind:     by_value
    .group_segment_fixed_size: 0
    .kernarg_segment_align: 8
    .kernarg_segment_size: 88
    .language:       OpenCL C
    .language_version:
      - 2
      - 0
    .max_flat_workgroup_size: 1024
    .name:           _ZN9rocsparseL13ellmvt_kernelILj1024El21rocsparse_complex_numIfES1_IdES3_S3_EEv20rocsparse_operation_T0_S5_S5_NS_24const_host_device_scalarIT4_EEPKS5_PKT1_PKT2_PT3_21rocsparse_index_base_b
    .private_segment_fixed_size: 0
    .sgpr_count:     24
    .sgpr_spill_count: 0
    .symbol:         _ZN9rocsparseL13ellmvt_kernelILj1024El21rocsparse_complex_numIfES1_IdES3_S3_EEv20rocsparse_operation_T0_S5_S5_NS_24const_host_device_scalarIT4_EEPKS5_PKT1_PKT2_PT3_21rocsparse_index_base_b.kd
    .uniform_work_group_size: 1
    .uses_dynamic_stack: false
    .vgpr_count:     14
    .vgpr_spill_count: 0
    .wavefront_size: 32
amdhsa.target:   amdgcn-amd-amdhsa--gfx1250
amdhsa.version:
  - 1
  - 2
...

	.end_amdgpu_metadata
